;; amdgpu-corpus repo=ROCm/rocFFT kind=compiled arch=gfx1201 opt=O3
	.text
	.amdgcn_target "amdgcn-amd-amdhsa--gfx1201"
	.amdhsa_code_object_version 6
	.protected	fft_rtc_fwd_len1820_factors_10_13_7_2_wgs_182_tpt_182_halfLds_dp_op_CI_CI_unitstride_sbrr_dirReg ; -- Begin function fft_rtc_fwd_len1820_factors_10_13_7_2_wgs_182_tpt_182_halfLds_dp_op_CI_CI_unitstride_sbrr_dirReg
	.globl	fft_rtc_fwd_len1820_factors_10_13_7_2_wgs_182_tpt_182_halfLds_dp_op_CI_CI_unitstride_sbrr_dirReg
	.p2align	8
	.type	fft_rtc_fwd_len1820_factors_10_13_7_2_wgs_182_tpt_182_halfLds_dp_op_CI_CI_unitstride_sbrr_dirReg,@function
fft_rtc_fwd_len1820_factors_10_13_7_2_wgs_182_tpt_182_halfLds_dp_op_CI_CI_unitstride_sbrr_dirReg: ; @fft_rtc_fwd_len1820_factors_10_13_7_2_wgs_182_tpt_182_halfLds_dp_op_CI_CI_unitstride_sbrr_dirReg
; %bb.0:
	s_clause 0x2
	s_load_b128 s[8:11], s[0:1], 0x0
	s_load_b128 s[4:7], s[0:1], 0x58
	;; [unrolled: 1-line block ×3, first 2 shown]
	v_mul_u32_u24_e32 v1, 0x169, v0
	v_mov_b32_e32 v4, 0
	v_mov_b32_e32 v5, 0
	s_delay_alu instid0(VALU_DEP_3) | instskip(NEXT) | instid1(VALU_DEP_1)
	v_lshrrev_b32_e32 v2, 16, v1
	v_dual_mov_b32 v1, 0 :: v_dual_add_nc_u32 v6, ttmp9, v2
	s_delay_alu instid0(VALU_DEP_1) | instskip(SKIP_2) | instid1(VALU_DEP_1)
	v_mov_b32_e32 v7, v1
	s_wait_kmcnt 0x0
	v_cmp_lt_u64_e64 s2, s[10:11], 2
	s_and_b32 vcc_lo, exec_lo, s2
	s_cbranch_vccnz .LBB0_8
; %bb.1:
	s_load_b64 s[2:3], s[0:1], 0x10
	v_mov_b32_e32 v4, 0
	v_mov_b32_e32 v5, 0
	s_add_nc_u64 s[16:17], s[14:15], 8
	s_add_nc_u64 s[18:19], s[12:13], 8
	s_mov_b64 s[20:21], 1
	s_delay_alu instid0(VALU_DEP_1)
	v_dual_mov_b32 v63, v5 :: v_dual_mov_b32 v62, v4
	s_wait_kmcnt 0x0
	s_add_nc_u64 s[22:23], s[2:3], 8
	s_mov_b32 s3, 0
.LBB0_2:                                ; =>This Inner Loop Header: Depth=1
	s_load_b64 s[24:25], s[22:23], 0x0
                                        ; implicit-def: $vgpr66_vgpr67
	s_mov_b32 s2, exec_lo
	s_wait_kmcnt 0x0
	v_or_b32_e32 v2, s25, v7
	s_delay_alu instid0(VALU_DEP_1)
	v_cmpx_ne_u64_e32 0, v[1:2]
	s_wait_alu 0xfffe
	s_xor_b32 s26, exec_lo, s2
	s_cbranch_execz .LBB0_4
; %bb.3:                                ;   in Loop: Header=BB0_2 Depth=1
	s_cvt_f32_u32 s2, s24
	s_cvt_f32_u32 s27, s25
	s_sub_nc_u64 s[30:31], 0, s[24:25]
	s_wait_alu 0xfffe
	s_delay_alu instid0(SALU_CYCLE_1) | instskip(SKIP_1) | instid1(SALU_CYCLE_2)
	s_fmamk_f32 s2, s27, 0x4f800000, s2
	s_wait_alu 0xfffe
	v_s_rcp_f32 s2, s2
	s_delay_alu instid0(TRANS32_DEP_1) | instskip(SKIP_1) | instid1(SALU_CYCLE_2)
	s_mul_f32 s2, s2, 0x5f7ffffc
	s_wait_alu 0xfffe
	s_mul_f32 s27, s2, 0x2f800000
	s_wait_alu 0xfffe
	s_delay_alu instid0(SALU_CYCLE_2) | instskip(SKIP_1) | instid1(SALU_CYCLE_2)
	s_trunc_f32 s27, s27
	s_wait_alu 0xfffe
	s_fmamk_f32 s2, s27, 0xcf800000, s2
	s_cvt_u32_f32 s29, s27
	s_wait_alu 0xfffe
	s_delay_alu instid0(SALU_CYCLE_1) | instskip(SKIP_1) | instid1(SALU_CYCLE_2)
	s_cvt_u32_f32 s28, s2
	s_wait_alu 0xfffe
	s_mul_u64 s[34:35], s[30:31], s[28:29]
	s_wait_alu 0xfffe
	s_mul_hi_u32 s37, s28, s35
	s_mul_i32 s36, s28, s35
	s_mul_hi_u32 s2, s28, s34
	s_mul_i32 s33, s29, s34
	s_wait_alu 0xfffe
	s_add_nc_u64 s[36:37], s[2:3], s[36:37]
	s_mul_hi_u32 s27, s29, s34
	s_mul_hi_u32 s38, s29, s35
	s_add_co_u32 s2, s36, s33
	s_wait_alu 0xfffe
	s_add_co_ci_u32 s2, s37, s27
	s_mul_i32 s34, s29, s35
	s_add_co_ci_u32 s35, s38, 0
	s_wait_alu 0xfffe
	s_add_nc_u64 s[34:35], s[2:3], s[34:35]
	s_wait_alu 0xfffe
	v_add_co_u32 v2, s2, s28, s34
	s_delay_alu instid0(VALU_DEP_1) | instskip(SKIP_1) | instid1(VALU_DEP_1)
	s_cmp_lg_u32 s2, 0
	s_add_co_ci_u32 s29, s29, s35
	v_readfirstlane_b32 s28, v2
	s_wait_alu 0xfffe
	s_delay_alu instid0(VALU_DEP_1)
	s_mul_u64 s[30:31], s[30:31], s[28:29]
	s_wait_alu 0xfffe
	s_mul_hi_u32 s35, s28, s31
	s_mul_i32 s34, s28, s31
	s_mul_hi_u32 s2, s28, s30
	s_mul_i32 s33, s29, s30
	s_wait_alu 0xfffe
	s_add_nc_u64 s[34:35], s[2:3], s[34:35]
	s_mul_hi_u32 s27, s29, s30
	s_mul_hi_u32 s28, s29, s31
	s_wait_alu 0xfffe
	s_add_co_u32 s2, s34, s33
	s_add_co_ci_u32 s2, s35, s27
	s_mul_i32 s30, s29, s31
	s_add_co_ci_u32 s31, s28, 0
	s_wait_alu 0xfffe
	s_add_nc_u64 s[30:31], s[2:3], s[30:31]
	s_wait_alu 0xfffe
	v_add_co_u32 v8, s2, v2, s30
	s_delay_alu instid0(VALU_DEP_1) | instskip(SKIP_1) | instid1(VALU_DEP_1)
	s_cmp_lg_u32 s2, 0
	s_add_co_ci_u32 s2, s29, s31
	v_mul_hi_u32 v12, v6, v8
	s_wait_alu 0xfffe
	v_mad_co_u64_u32 v[2:3], null, v6, s2, 0
	v_mad_co_u64_u32 v[8:9], null, v7, v8, 0
	;; [unrolled: 1-line block ×3, first 2 shown]
	s_delay_alu instid0(VALU_DEP_3) | instskip(SKIP_1) | instid1(VALU_DEP_4)
	v_add_co_u32 v2, vcc_lo, v12, v2
	s_wait_alu 0xfffd
	v_add_co_ci_u32_e32 v3, vcc_lo, 0, v3, vcc_lo
	s_delay_alu instid0(VALU_DEP_2) | instskip(SKIP_1) | instid1(VALU_DEP_2)
	v_add_co_u32 v2, vcc_lo, v2, v8
	s_wait_alu 0xfffd
	v_add_co_ci_u32_e32 v2, vcc_lo, v3, v9, vcc_lo
	s_wait_alu 0xfffd
	v_add_co_ci_u32_e32 v3, vcc_lo, 0, v11, vcc_lo
	s_delay_alu instid0(VALU_DEP_2) | instskip(SKIP_1) | instid1(VALU_DEP_2)
	v_add_co_u32 v8, vcc_lo, v2, v10
	s_wait_alu 0xfffd
	v_add_co_ci_u32_e32 v9, vcc_lo, 0, v3, vcc_lo
	s_delay_alu instid0(VALU_DEP_2) | instskip(SKIP_1) | instid1(VALU_DEP_3)
	v_mul_lo_u32 v10, s25, v8
	v_mad_co_u64_u32 v[2:3], null, s24, v8, 0
	v_mul_lo_u32 v11, s24, v9
	s_delay_alu instid0(VALU_DEP_2) | instskip(NEXT) | instid1(VALU_DEP_2)
	v_sub_co_u32 v2, vcc_lo, v6, v2
	v_add3_u32 v3, v3, v11, v10
	s_delay_alu instid0(VALU_DEP_1) | instskip(SKIP_1) | instid1(VALU_DEP_1)
	v_sub_nc_u32_e32 v10, v7, v3
	s_wait_alu 0xfffd
	v_subrev_co_ci_u32_e64 v10, s2, s25, v10, vcc_lo
	v_add_co_u32 v11, s2, v8, 2
	s_wait_alu 0xf1ff
	v_add_co_ci_u32_e64 v12, s2, 0, v9, s2
	v_sub_co_u32 v13, s2, v2, s24
	v_sub_co_ci_u32_e32 v3, vcc_lo, v7, v3, vcc_lo
	s_wait_alu 0xf1ff
	v_subrev_co_ci_u32_e64 v10, s2, 0, v10, s2
	s_delay_alu instid0(VALU_DEP_3) | instskip(NEXT) | instid1(VALU_DEP_3)
	v_cmp_le_u32_e32 vcc_lo, s24, v13
	v_cmp_eq_u32_e64 s2, s25, v3
	s_wait_alu 0xfffd
	v_cndmask_b32_e64 v13, 0, -1, vcc_lo
	v_cmp_le_u32_e32 vcc_lo, s25, v10
	s_wait_alu 0xfffd
	v_cndmask_b32_e64 v14, 0, -1, vcc_lo
	v_cmp_le_u32_e32 vcc_lo, s24, v2
	;; [unrolled: 3-line block ×3, first 2 shown]
	s_wait_alu 0xfffd
	v_cndmask_b32_e64 v15, 0, -1, vcc_lo
	v_cmp_eq_u32_e32 vcc_lo, s25, v10
	s_wait_alu 0xf1ff
	s_delay_alu instid0(VALU_DEP_2)
	v_cndmask_b32_e64 v2, v15, v2, s2
	s_wait_alu 0xfffd
	v_cndmask_b32_e32 v10, v14, v13, vcc_lo
	v_add_co_u32 v13, vcc_lo, v8, 1
	s_wait_alu 0xfffd
	v_add_co_ci_u32_e32 v14, vcc_lo, 0, v9, vcc_lo
	s_delay_alu instid0(VALU_DEP_3) | instskip(SKIP_1) | instid1(VALU_DEP_2)
	v_cmp_ne_u32_e32 vcc_lo, 0, v10
	s_wait_alu 0xfffd
	v_dual_cndmask_b32 v3, v14, v12 :: v_dual_cndmask_b32 v10, v13, v11
	v_cmp_ne_u32_e32 vcc_lo, 0, v2
	s_wait_alu 0xfffd
	s_delay_alu instid0(VALU_DEP_2)
	v_dual_cndmask_b32 v67, v9, v3 :: v_dual_cndmask_b32 v66, v8, v10
.LBB0_4:                                ;   in Loop: Header=BB0_2 Depth=1
	s_wait_alu 0xfffe
	s_and_not1_saveexec_b32 s2, s26
	s_cbranch_execz .LBB0_6
; %bb.5:                                ;   in Loop: Header=BB0_2 Depth=1
	v_cvt_f32_u32_e32 v2, s24
	s_sub_co_i32 s26, 0, s24
	v_mov_b32_e32 v67, v1
	s_delay_alu instid0(VALU_DEP_2) | instskip(NEXT) | instid1(TRANS32_DEP_1)
	v_rcp_iflag_f32_e32 v2, v2
	v_mul_f32_e32 v2, 0x4f7ffffe, v2
	s_delay_alu instid0(VALU_DEP_1) | instskip(SKIP_1) | instid1(VALU_DEP_1)
	v_cvt_u32_f32_e32 v2, v2
	s_wait_alu 0xfffe
	v_mul_lo_u32 v3, s26, v2
	s_delay_alu instid0(VALU_DEP_1) | instskip(NEXT) | instid1(VALU_DEP_1)
	v_mul_hi_u32 v3, v2, v3
	v_add_nc_u32_e32 v2, v2, v3
	s_delay_alu instid0(VALU_DEP_1) | instskip(NEXT) | instid1(VALU_DEP_1)
	v_mul_hi_u32 v2, v6, v2
	v_mul_lo_u32 v3, v2, s24
	v_add_nc_u32_e32 v8, 1, v2
	s_delay_alu instid0(VALU_DEP_2) | instskip(NEXT) | instid1(VALU_DEP_1)
	v_sub_nc_u32_e32 v3, v6, v3
	v_subrev_nc_u32_e32 v9, s24, v3
	v_cmp_le_u32_e32 vcc_lo, s24, v3
	s_wait_alu 0xfffd
	s_delay_alu instid0(VALU_DEP_2) | instskip(NEXT) | instid1(VALU_DEP_1)
	v_dual_cndmask_b32 v3, v3, v9 :: v_dual_cndmask_b32 v2, v2, v8
	v_cmp_le_u32_e32 vcc_lo, s24, v3
	s_delay_alu instid0(VALU_DEP_2) | instskip(SKIP_1) | instid1(VALU_DEP_1)
	v_add_nc_u32_e32 v8, 1, v2
	s_wait_alu 0xfffd
	v_cndmask_b32_e32 v66, v2, v8, vcc_lo
.LBB0_6:                                ;   in Loop: Header=BB0_2 Depth=1
	s_wait_alu 0xfffe
	s_or_b32 exec_lo, exec_lo, s2
	v_mul_lo_u32 v8, v67, s24
	s_delay_alu instid0(VALU_DEP_2)
	v_mul_lo_u32 v9, v66, s25
	s_load_b64 s[26:27], s[18:19], 0x0
	v_mad_co_u64_u32 v[2:3], null, v66, s24, 0
	s_load_b64 s[24:25], s[16:17], 0x0
	s_add_nc_u64 s[20:21], s[20:21], 1
	s_add_nc_u64 s[16:17], s[16:17], 8
	s_wait_alu 0xfffe
	v_cmp_ge_u64_e64 s2, s[20:21], s[10:11]
	s_add_nc_u64 s[18:19], s[18:19], 8
	s_add_nc_u64 s[22:23], s[22:23], 8
	v_add3_u32 v3, v3, v9, v8
	v_sub_co_u32 v2, vcc_lo, v6, v2
	s_wait_alu 0xfffd
	s_delay_alu instid0(VALU_DEP_2) | instskip(SKIP_2) | instid1(VALU_DEP_1)
	v_sub_co_ci_u32_e32 v3, vcc_lo, v7, v3, vcc_lo
	s_and_b32 vcc_lo, exec_lo, s2
	s_wait_kmcnt 0x0
	v_mul_lo_u32 v6, s26, v3
	v_mul_lo_u32 v7, s27, v2
	v_mad_co_u64_u32 v[4:5], null, s26, v2, v[4:5]
	v_mul_lo_u32 v3, s24, v3
	v_mul_lo_u32 v8, s25, v2
	v_mad_co_u64_u32 v[62:63], null, s24, v2, v[62:63]
	s_delay_alu instid0(VALU_DEP_4) | instskip(NEXT) | instid1(VALU_DEP_2)
	v_add3_u32 v5, v7, v5, v6
	v_add3_u32 v63, v8, v63, v3
	s_wait_alu 0xfffe
	s_cbranch_vccnz .LBB0_9
; %bb.7:                                ;   in Loop: Header=BB0_2 Depth=1
	v_dual_mov_b32 v6, v66 :: v_dual_mov_b32 v7, v67
	s_branch .LBB0_2
.LBB0_8:
	v_dual_mov_b32 v63, v5 :: v_dual_mov_b32 v62, v4
	v_dual_mov_b32 v67, v7 :: v_dual_mov_b32 v66, v6
.LBB0_9:
	s_load_b64 s[0:1], s[0:1], 0x28
	v_mul_hi_u32 v1, 0x1681682, v0
	s_lshl_b64 s[10:11], s[10:11], 3
                                        ; implicit-def: $vgpr64
	s_wait_kmcnt 0x0
	v_cmp_gt_u64_e32 vcc_lo, s[0:1], v[66:67]
	v_cmp_le_u64_e64 s0, s[0:1], v[66:67]
	s_delay_alu instid0(VALU_DEP_1)
	s_and_saveexec_b32 s1, s0
	s_wait_alu 0xfffe
	s_xor_b32 s0, exec_lo, s1
; %bb.10:
	v_mul_u32_u24_e32 v1, 0xb6, v1
                                        ; implicit-def: $vgpr4_vgpr5
	s_delay_alu instid0(VALU_DEP_1)
	v_sub_nc_u32_e32 v64, v0, v1
                                        ; implicit-def: $vgpr1
                                        ; implicit-def: $vgpr0
; %bb.11:
	s_wait_alu 0xfffe
	s_or_saveexec_b32 s1, s0
	s_add_nc_u64 s[2:3], s[14:15], s[10:11]
                                        ; implicit-def: $vgpr60_vgpr61
                                        ; implicit-def: $vgpr52_vgpr53
                                        ; implicit-def: $vgpr48_vgpr49
                                        ; implicit-def: $vgpr36_vgpr37
                                        ; implicit-def: $vgpr56_vgpr57
                                        ; implicit-def: $vgpr44_vgpr45
                                        ; implicit-def: $vgpr40_vgpr41
                                        ; implicit-def: $vgpr32_vgpr33
                                        ; implicit-def: $vgpr28_vgpr29
                                        ; implicit-def: $vgpr2_vgpr3
	s_wait_alu 0xfffe
	s_xor_b32 exec_lo, exec_lo, s1
	s_cbranch_execz .LBB0_13
; %bb.12:
	s_add_nc_u64 s[10:11], s[12:13], s[10:11]
	s_load_b64 s[10:11], s[10:11], 0x0
	s_wait_kmcnt 0x0
	v_mul_lo_u32 v6, s11, v66
	v_mul_lo_u32 v7, s10, v67
	v_mad_co_u64_u32 v[2:3], null, s10, v66, 0
	s_delay_alu instid0(VALU_DEP_1) | instskip(SKIP_1) | instid1(VALU_DEP_2)
	v_add3_u32 v3, v3, v7, v6
	v_mul_u32_u24_e32 v6, 0xb6, v1
	v_lshlrev_b64_e32 v[1:2], 4, v[2:3]
	v_lshlrev_b64_e32 v[3:4], 4, v[4:5]
	s_delay_alu instid0(VALU_DEP_3) | instskip(NEXT) | instid1(VALU_DEP_3)
	v_sub_nc_u32_e32 v64, v0, v6
	v_add_co_u32 v0, s0, s4, v1
	s_wait_alu 0xf1ff
	s_delay_alu instid0(VALU_DEP_4) | instskip(NEXT) | instid1(VALU_DEP_3)
	v_add_co_ci_u32_e64 v1, s0, s5, v2, s0
	v_lshlrev_b32_e32 v2, 4, v64
	s_delay_alu instid0(VALU_DEP_3) | instskip(SKIP_1) | instid1(VALU_DEP_3)
	v_add_co_u32 v0, s0, v0, v3
	s_wait_alu 0xf1ff
	v_add_co_ci_u32_e64 v1, s0, v1, v4, s0
	s_delay_alu instid0(VALU_DEP_2) | instskip(SKIP_1) | instid1(VALU_DEP_2)
	v_add_co_u32 v4, s0, v0, v2
	s_wait_alu 0xf1ff
	v_add_co_ci_u32_e64 v5, s0, 0, v1, s0
	s_clause 0x9
	global_load_b128 v[0:3], v[4:5], off
	global_load_b128 v[26:29], v[4:5], off offset:2912
	global_load_b128 v[30:33], v[4:5], off offset:5824
	;; [unrolled: 1-line block ×9, first 2 shown]
.LBB0_13:
	s_or_b32 exec_lo, exec_lo, s1
	s_wait_loadcnt 0x2
	v_add_f64_e32 v[4:5], v[46:47], v[54:55]
	s_wait_loadcnt 0x0
	v_add_f64_e32 v[6:7], v[58:59], v[38:39]
	v_add_f64_e32 v[8:9], v[48:49], v[56:57]
	v_add_f64_e64 v[10:11], v[40:41], -v[60:61]
	v_add_f64_e32 v[12:13], v[60:61], v[40:41]
	v_add_f64_e64 v[14:15], v[56:57], -v[48:49]
	s_mov_b32 s14, 0x134454ff
	s_mov_b32 s15, 0x3fee6f0e
	;; [unrolled: 1-line block ×4, first 2 shown]
	v_add_f64_e32 v[16:17], v[34:35], v[42:43]
	v_add_f64_e32 v[18:19], v[50:51], v[30:31]
	v_add_f64_e64 v[20:21], v[38:39], -v[58:59]
	v_add_f64_e64 v[22:23], v[38:39], -v[54:55]
	;; [unrolled: 1-line block ×6, first 2 shown]
	s_mov_b32 s10, 0x4755a5e
	s_mov_b32 s11, 0x3fe2cf23
	;; [unrolled: 1-line block ×3, first 2 shown]
	s_wait_alu 0xfffe
	s_mov_b32 s12, s10
	v_add_f64_e32 v[78:79], v[30:31], v[0:1]
	v_add_f64_e64 v[80:81], v[32:33], -v[52:53]
	v_add_f64_e64 v[82:83], v[44:45], -v[36:37]
	;; [unrolled: 1-line block ×5, first 2 shown]
	s_mov_b32 s16, 0x372fe950
	s_mov_b32 s17, 0x3fd3c6ef
	v_add_f64_e64 v[90:91], v[34:35], -v[50:51]
	s_mov_b32 s18, 0x9b97f4a8
	s_mov_b32 s19, 0x3fe9e377
	s_load_b64 s[2:3], s[2:3], 0x0
	v_cmp_gt_u32_e64 s0, 0x8c, v64
	v_fma_f64 v[4:5], v[4:5], -0.5, v[26:27]
	v_fma_f64 v[6:7], v[6:7], -0.5, v[26:27]
	;; [unrolled: 1-line block ×3, first 2 shown]
	v_add_f64_e32 v[26:27], v[38:39], v[26:27]
	v_fma_f64 v[12:13], v[12:13], -0.5, v[28:29]
	v_add_f64_e64 v[38:39], v[56:57], -v[40:41]
	v_fma_f64 v[16:17], v[16:17], -0.5, v[0:1]
	v_fma_f64 v[0:1], v[18:19], -0.5, v[0:1]
	v_add_f64_e32 v[18:19], v[24:25], v[22:23]
	v_add_f64_e32 v[22:23], v[70:71], v[68:69]
	;; [unrolled: 1-line block ×4, first 2 shown]
	v_fma_f64 v[74:75], v[10:11], s[14:15], v[4:5]
	v_fma_f64 v[76:77], v[14:15], s[4:5], v[6:7]
	;; [unrolled: 1-line block ×8, first 2 shown]
	v_add_f64_e32 v[26:27], v[54:55], v[26:27]
	v_add_f64_e32 v[54:55], v[88:89], v[38:39]
	v_fma_f64 v[86:87], v[80:81], s[14:15], v[16:17]
	v_fma_f64 v[16:17], v[80:81], s[4:5], v[16:17]
	;; [unrolled: 1-line block ×8, first 2 shown]
	v_add_f64_e64 v[10:11], v[30:31], -v[42:43]
	v_add_f64_e64 v[14:15], v[50:51], -v[34:35]
	;; [unrolled: 1-line block ×3, first 2 shown]
	v_fma_f64 v[24:25], v[72:73], s[12:13], v[24:25]
	v_fma_f64 v[8:9], v[72:73], s[10:11], v[8:9]
	;; [unrolled: 1-line block ×11, first 2 shown]
	v_add_f64_e32 v[4:5], v[14:15], v[10:11]
	v_add_f64_e32 v[6:7], v[90:91], v[76:77]
	;; [unrolled: 1-line block ×4, first 2 shown]
	v_fma_f64 v[22:23], v[80:81], s[12:13], v[92:93]
	v_fma_f64 v[46:47], v[84:85], s[16:17], v[24:25]
	;; [unrolled: 1-line block ×5, first 2 shown]
	v_mul_f64_e32 v[8:9], s[18:19], v[72:73]
	v_mul_f64_e32 v[12:13], s[16:17], v[70:71]
	;; [unrolled: 1-line block ×4, first 2 shown]
	v_fma_f64 v[18:19], v[4:5], s[16:17], v[18:19]
	v_fma_f64 v[54:55], v[4:5], s[16:17], v[16:17]
	v_add_f64_e32 v[10:11], v[50:51], v[10:11]
	v_add_f64_e32 v[14:15], v[58:59], v[14:15]
	v_fma_f64 v[16:17], v[6:7], s[16:17], v[20:21]
	v_fma_f64 v[58:59], v[6:7], s[16:17], v[22:23]
	;; [unrolled: 1-line block ×4, first 2 shown]
	v_fma_f64 v[24:25], v[76:77], s[14:15], -v[24:25]
	v_fma_f64 v[26:27], v[74:75], s[10:11], -v[26:27]
	v_add_f64_e32 v[4:5], v[14:15], v[10:11]
	v_add_f64_e64 v[14:15], v[10:11], -v[14:15]
	v_add_f64_e32 v[6:7], v[18:19], v[8:9]
	v_add_f64_e32 v[20:21], v[16:17], v[78:79]
	;; [unrolled: 1-line block ×4, first 2 shown]
	v_add_f64_e64 v[8:9], v[18:19], -v[8:9]
	v_add_f64_e64 v[10:11], v[16:17], -v[78:79]
	;; [unrolled: 1-line block ×4, first 2 shown]
	v_mul_u32_u24_e32 v24, 10, v64
                                        ; implicit-def: $vgpr54_vgpr55
                                        ; implicit-def: $vgpr26_vgpr27
	s_delay_alu instid0(VALU_DEP_1)
	v_lshl_add_u32 v59, v24, 3, 0
	ds_store_b128 v59, v[4:7]
	ds_store_b128 v59, v[20:23] offset:16
	ds_store_b128 v59, v[12:15] offset:32
	;; [unrolled: 1-line block ×4, first 2 shown]
	v_mad_i32_i24 v58, 0xffffffb8, v64, v59
	global_wb scope:SCOPE_SE
	s_wait_dscnt 0x0
	s_wait_kmcnt 0x0
	s_barrier_signal -1
	s_barrier_wait -1
	global_inv scope:SCOPE_SE
	s_and_saveexec_b32 s1, s0
	s_cbranch_execz .LBB0_15
; %bb.14:
	v_add_nc_u32_e32 v8, 0x800, v58
	v_add_nc_u32_e32 v9, 0x1000, v58
	;; [unrolled: 1-line block ×5, first 2 shown]
	ds_load_2addr_b64 v[4:7], v58 offset1:140
	ds_load_2addr_b64 v[20:23], v8 offset0:24 offset1:164
	ds_load_2addr_b64 v[12:15], v9 offset0:48 offset1:188
	;; [unrolled: 1-line block ×5, first 2 shown]
	ds_load_b64 v[54:55], v58 offset:13440
.LBB0_15:
	s_wait_alu 0xfffe
	s_or_b32 exec_lo, exec_lo, s1
	v_add_f64_e32 v[78:79], v[36:37], v[44:45]
	v_add_f64_e32 v[80:81], v[52:53], v[32:33]
	;; [unrolled: 1-line block ×3, first 2 shown]
	v_add_f64_e64 v[30:31], v[30:31], -v[50:51]
	v_add_f64_e32 v[28:29], v[40:41], v[28:29]
	v_add_f64_e64 v[34:35], v[42:43], -v[34:35]
	v_add_f64_e64 v[42:43], v[32:33], -v[44:45]
	;; [unrolled: 1-line block ×4, first 2 shown]
	v_mul_f64_e32 v[72:73], s[12:13], v[72:73]
	v_mul_f64_e32 v[70:71], s[4:5], v[70:71]
	;; [unrolled: 1-line block ×4, first 2 shown]
	global_wb scope:SCOPE_SE
	s_wait_dscnt 0x0
	s_barrier_signal -1
	s_barrier_wait -1
	global_inv scope:SCOPE_SE
	v_fma_f64 v[40:41], v[78:79], -0.5, v[2:3]
	v_fma_f64 v[2:3], v[80:81], -0.5, v[2:3]
	v_add_f64_e32 v[44:45], v[44:45], v[82:83]
	v_add_f64_e32 v[28:29], v[56:57], v[28:29]
	v_add_f64_e64 v[56:57], v[36:37], -v[52:53]
	v_add_f64_e32 v[42:43], v[50:51], v[42:43]
	v_fma_f64 v[46:47], v[46:47], s[18:19], v[72:73]
	v_fma_f64 v[50:51], v[68:69], s[16:17], v[70:71]
	v_fma_f64 v[38:39], v[38:39], s[4:5], -v[76:77]
	v_fma_f64 v[78:79], v[30:31], s[4:5], v[40:41]
	v_fma_f64 v[80:81], v[34:35], s[14:15], v[2:3]
	;; [unrolled: 1-line block ×4, first 2 shown]
	v_add_f64_e32 v[36:37], v[36:37], v[44:45]
	v_add_f64_e32 v[28:29], v[48:49], v[28:29]
	;; [unrolled: 1-line block ×3, first 2 shown]
	v_fma_f64 v[44:45], v[34:35], s[12:13], v[78:79]
	v_fma_f64 v[48:49], v[30:31], s[12:13], v[80:81]
	;; [unrolled: 1-line block ×4, first 2 shown]
	v_add_f64_e32 v[34:35], v[52:53], v[36:37]
	v_add_f64_e32 v[28:29], v[60:61], v[28:29]
	v_fma_f64 v[52:53], v[0:1], s[12:13], -v[74:75]
	v_fma_f64 v[36:37], v[42:43], s[16:17], v[44:45]
	v_fma_f64 v[44:45], v[32:33], s[16:17], v[48:49]
	;; [unrolled: 1-line block ×4, first 2 shown]
	v_add_f64_e32 v[0:1], v[28:29], v[34:35]
	v_add_f64_e64 v[34:35], v[34:35], -v[28:29]
	v_add_f64_e32 v[2:3], v[36:37], v[46:47]
	v_add_f64_e32 v[40:41], v[44:45], v[50:51]
	;; [unrolled: 1-line block ×4, first 2 shown]
	v_add_f64_e64 v[28:29], v[36:37], -v[46:47]
	v_add_f64_e64 v[30:31], v[44:45], -v[50:51]
	;; [unrolled: 1-line block ×4, first 2 shown]
                                        ; implicit-def: $vgpr48_vgpr49
                                        ; implicit-def: $vgpr46_vgpr47
	ds_store_b128 v59, v[0:3]
	ds_store_b128 v59, v[40:43] offset:16
	ds_store_b128 v59, v[32:35] offset:32
	;; [unrolled: 1-line block ×4, first 2 shown]
	global_wb scope:SCOPE_SE
	s_wait_dscnt 0x0
	s_barrier_signal -1
	s_barrier_wait -1
	global_inv scope:SCOPE_SE
	s_and_saveexec_b32 s1, s0
	s_cbranch_execz .LBB0_17
; %bb.16:
	v_add_nc_u32_e32 v28, 0x800, v58
	v_add_nc_u32_e32 v29, 0x1000, v58
	;; [unrolled: 1-line block ×5, first 2 shown]
	ds_load_2addr_b64 v[0:3], v58 offset1:140
	ds_load_2addr_b64 v[40:43], v28 offset0:24 offset1:164
	ds_load_2addr_b64 v[32:35], v29 offset0:48 offset1:188
	;; [unrolled: 1-line block ×5, first 2 shown]
	ds_load_b64 v[48:49], v58 offset:13440
.LBB0_17:
	s_wait_alu 0xfffe
	s_or_b32 exec_lo, exec_lo, s1
	v_and_b32_e32 v50, 0xff, v64
	s_mov_b32 s24, 0x42a4c3d2
	s_mov_b32 s30, 0x66966769
	;; [unrolled: 1-line block ×4, first 2 shown]
	v_mul_lo_u16 v50, 0xcd, v50
	s_mov_b32 s28, 0x24c2f84
	s_mov_b32 s21, 0xbfddbe06
	;; [unrolled: 1-line block ×4, first 2 shown]
	v_lshrrev_b16 v65, 11, v50
	s_mov_b32 s31, 0xbfefc445
	s_mov_b32 s23, 0xbfedeba7
	;; [unrolled: 1-line block ×4, first 2 shown]
	v_mul_lo_u16 v50, v65, 10
	s_mov_b32 s12, 0xe00740e9
	s_mov_b32 s10, 0x1ea71119
	;; [unrolled: 1-line block ×4, first 2 shown]
	v_sub_nc_u16 v50, v64, v50
	s_mov_b32 s18, 0x93053d00
	s_mov_b32 s16, 0xd0032e0c
	;; [unrolled: 1-line block ×4, first 2 shown]
	v_and_b32_e32 v154, 0xff, v50
	s_mov_b32 s5, 0x3fbedb7d
	s_mov_b32 s15, 0xbfd6b1d8
	;; [unrolled: 1-line block ×4, first 2 shown]
	v_mul_u32_u24_e32 v50, 12, v154
	s_mov_b32 s17, 0xbfe7f3cc
	s_mov_b32 s35, 0x3fefc445
	s_wait_alu 0xfffe
	s_mov_b32 s36, s28
	s_mov_b32 s34, s30
	v_lshlrev_b32_e32 v50, 4, v50
	s_mov_b32 s39, 0x3fedeba7
	s_mov_b32 s38, s22
	;; [unrolled: 1-line block ×4, first 2 shown]
	s_clause 0xb
	global_load_b128 v[56:59], v50, s[8:9] offset:176
	global_load_b128 v[68:71], v50, s[8:9]
	global_load_b128 v[72:75], v50, s[8:9] offset:16
	global_load_b128 v[76:79], v50, s[8:9] offset:160
	;; [unrolled: 1-line block ×10, first 2 shown]
	v_and_b32_e32 v65, 0xffff, v65
	global_wb scope:SCOPE_SE
	s_wait_loadcnt_dscnt 0x0
	s_barrier_signal -1
	s_barrier_wait -1
	global_inv scope:SCOPE_SE
	v_mul_f64_e32 v[50:51], v[54:55], v[58:59]
	v_mul_f64_e32 v[52:53], v[6:7], v[70:71]
	;; [unrolled: 1-line block ×13, first 2 shown]
	v_fma_f64 v[48:49], v[48:49], v[56:57], v[50:51]
	v_fma_f64 v[50:51], v[2:3], v[68:69], v[52:53]
	v_mul_f64_e32 v[2:3], v[22:23], v[96:97]
	v_fma_f64 v[52:53], v[40:41], v[72:73], v[60:61]
	v_fma_f64 v[40:41], v[46:47], v[76:77], v[80:81]
	v_fma_f64 v[80:81], v[54:55], v[56:57], -v[58:59]
	v_fma_f64 v[82:83], v[6:7], v[68:69], -v[70:71]
	v_mul_f64_e32 v[60:61], v[42:43], v[96:97]
	v_mul_f64_e32 v[68:69], v[12:13], v[108:109]
	;; [unrolled: 1-line block ×4, first 2 shown]
	v_fma_f64 v[56:57], v[20:21], v[72:73], -v[74:75]
	v_fma_f64 v[58:59], v[26:27], v[76:77], -v[78:79]
	v_mul_f64_e32 v[72:73], v[14:15], v[118:119]
	v_mul_f64_e32 v[74:75], v[16:17], v[122:123]
	;; [unrolled: 1-line block ×5, first 2 shown]
	v_add_f64_e64 v[6:7], v[50:51], -v[48:49]
	v_fma_f64 v[46:47], v[42:43], v[94:95], v[2:3]
	v_fma_f64 v[42:43], v[44:45], v[98:99], v[84:85]
	v_add_f64_e64 v[2:3], v[52:53], -v[40:41]
	v_add_f64_e32 v[88:89], v[82:83], v[80:81]
	v_fma_f64 v[60:61], v[22:23], v[94:95], -v[60:61]
	v_fma_f64 v[26:27], v[32:33], v[106:107], v[68:69]
	v_fma_f64 v[20:21], v[38:39], v[110:111], v[70:71]
	v_fma_f64 v[68:69], v[24:25], v[98:99], -v[96:97]
	v_add_f64_e32 v[104:105], v[56:57], v[58:59]
	v_fma_f64 v[24:25], v[34:35], v[116:117], v[72:73]
	v_fma_f64 v[22:23], v[36:37], v[120:121], v[74:75]
	v_fma_f64 v[72:73], v[18:19], v[110:111], -v[76:77]
	v_fma_f64 v[76:77], v[14:15], v[116:117], -v[118:119]
	v_fma_f64 v[18:19], v[30:31], v[130:131], v[142:143]
	v_mul_f64_e32 v[44:45], s[20:21], v[6:7]
	v_mul_f64_e32 v[54:55], s[24:25], v[6:7]
	;; [unrolled: 1-line block ×6, first 2 shown]
	s_mov_b32 s21, 0x3fddbe06
	v_mul_f64_e32 v[6:7], v[32:33], v[108:109]
	v_add_f64_e64 v[32:33], v[46:47], -v[42:43]
	v_mul_f64_e32 v[38:39], s[24:25], v[2:3]
	v_mul_f64_e32 v[94:95], s[22:23], v[2:3]
	;; [unrolled: 1-line block ×4, first 2 shown]
	s_wait_alu 0xfffe
	v_mul_f64_e32 v[100:101], s[34:35], v[2:3]
	v_mul_f64_e32 v[102:103], s[20:21], v[2:3]
	v_add_f64_e32 v[114:115], v[60:61], v[68:69]
	v_add_f64_e64 v[14:15], v[24:25], -v[22:23]
	v_fma_f64 v[2:3], v[88:89], s[12:13], v[44:45]
	v_fma_f64 v[78:79], v[88:89], s[10:11], v[54:55]
	;; [unrolled: 1-line block ×6, first 2 shown]
	v_fma_f64 v[70:71], v[12:13], v[106:107], -v[6:7]
	v_add_f64_e64 v[6:7], v[26:27], -v[20:21]
	v_mul_f64_e32 v[34:35], s[30:31], v[32:33]
	v_mul_f64_e32 v[36:37], s[26:27], v[32:33]
	;; [unrolled: 1-line block ×6, first 2 shown]
	v_fma_f64 v[12:13], v[104:105], s[10:11], v[38:39]
	v_fma_f64 v[74:75], v[104:105], s[14:15], v[94:95]
	v_fma_f64 v[144:145], v[104:105], s[18:19], v[96:97]
	v_fma_f64 v[146:147], v[104:105], s[16:17], v[98:99]
	v_fma_f64 v[148:149], v[104:105], s[4:5], v[100:101]
	v_fma_f64 v[150:151], v[104:105], s[12:13], v[102:103]
	s_mov_b32 s39, 0x3fcea1e5
	s_mov_b32 s38, s26
	v_fma_f64 v[32:33], v[28:29], v[126:127], v[140:141]
	v_fma_f64 v[28:29], v[8:9], v[126:127], -v[128:129]
	v_mul_f64_e32 v[126:127], s[28:29], v[14:15]
	v_mul_f64_e32 v[128:129], s[34:35], v[14:15]
	v_mul_f64_e32 v[140:141], s[22:23], v[14:15]
	v_add_f64_e32 v[2:3], v[4:5], v[2:3]
	v_add_f64_e32 v[152:153], v[4:5], v[78:79]
	;; [unrolled: 1-line block ×6, first 2 shown]
	v_fma_f64 v[78:79], v[16:17], v[120:121], -v[122:123]
	v_add_f64_e32 v[124:125], v[70:71], v[72:73]
	v_mul_f64_e32 v[16:17], s[22:23], v[6:7]
	v_mul_f64_e32 v[30:31], s[36:37], v[6:7]
	;; [unrolled: 1-line block ×3, first 2 shown]
	s_wait_alu 0xfffe
	v_mul_f64_e32 v[120:121], s[38:39], v[6:7]
	v_mul_f64_e32 v[122:123], s[40:41], v[6:7]
	;; [unrolled: 1-line block ×3, first 2 shown]
	v_fma_f64 v[6:7], v[114:115], s[4:5], v[34:35]
	v_fma_f64 v[142:143], v[114:115], s[18:19], v[36:37]
	;; [unrolled: 1-line block ×6, first 2 shown]
	v_add_f64_e64 v[8:9], v[32:33], -v[18:19]
	v_add_f64_e32 v[2:3], v[12:13], v[2:3]
	v_add_f64_e32 v[12:13], v[74:75], v[152:153]
	;; [unrolled: 1-line block ×6, first 2 shown]
	v_fma_f64 v[74:75], v[10:11], v[130:131], -v[132:133]
	v_add_f64_e32 v[132:133], v[76:77], v[78:79]
	v_mul_f64_e32 v[130:131], s[24:25], v[14:15]
	v_mul_f64_e32 v[134:135], s[38:39], v[14:15]
	;; [unrolled: 1-line block ×3, first 2 shown]
	v_fma_f64 v[10:11], v[124:125], s[14:15], v[16:17]
	v_fma_f64 v[14:15], v[124:125], s[16:17], v[30:31]
	v_fma_f64 v[155:156], v[124:125], s[4:5], v[116:117]
	v_fma_f64 v[165:166], v[124:125], s[18:19], v[120:121]
	v_fma_f64 v[167:168], v[124:125], s[10:11], v[122:123]
	v_fma_f64 v[169:170], v[124:125], s[12:13], v[118:119]
	v_mul_f64_e32 v[152:153], s[34:35], v[8:9]
	v_add_f64_e32 v[2:3], v[6:7], v[2:3]
	v_add_f64_e32 v[6:7], v[142:143], v[12:13]
	;; [unrolled: 1-line block ×7, first 2 shown]
	v_mul_f64_e32 v[136:137], s[26:27], v[8:9]
	v_mul_f64_e32 v[142:143], s[28:29], v[8:9]
	;; [unrolled: 1-line block ×5, first 2 shown]
	v_fma_f64 v[8:9], v[132:133], s[16:17], v[126:127]
	v_fma_f64 v[163:164], v[132:133], s[4:5], v[128:129]
	;; [unrolled: 1-line block ×6, first 2 shown]
	v_add_f64_e32 v[2:3], v[10:11], v[2:3]
	v_add_f64_e32 v[6:7], v[14:15], v[6:7]
	;; [unrolled: 1-line block ×6, first 2 shown]
	v_fma_f64 v[167:168], v[150:151], s[4:5], v[152:153]
	v_fma_f64 v[157:158], v[150:151], s[18:19], v[136:137]
	;; [unrolled: 1-line block ×6, first 2 shown]
	v_add_f64_e32 v[2:3], v[8:9], v[2:3]
	v_add_f64_e32 v[8:9], v[163:164], v[6:7]
	;; [unrolled: 1-line block ×12, first 2 shown]
	v_lshlrev_b32_e32 v157, 3, v154
	s_and_saveexec_b32 s1, s0
	s_cbranch_execz .LBB0_19
; %bb.18:
	v_add_f64_e32 v[154:155], v[4:5], v[82:83]
	v_mul_f64_e32 v[160:161], s[16:17], v[88:89]
	v_mul_f64_e32 v[162:163], s[4:5], v[88:89]
	;; [unrolled: 1-line block ×12, first 2 shown]
	v_add_f64_e32 v[154:155], v[154:155], v[56:57]
	v_add_f64_e64 v[90:91], v[160:161], -v[90:91]
	v_add_f64_e64 v[86:87], v[162:163], -v[86:87]
	;; [unrolled: 1-line block ×6, first 2 shown]
	v_mul_f64_e32 v[158:159], s[18:19], v[114:115]
	v_mul_f64_e32 v[160:161], s[14:15], v[114:115]
	;; [unrolled: 1-line block ×3, first 2 shown]
	v_add_f64_e64 v[100:101], v[170:171], -v[100:101]
	v_add_f64_e64 v[96:97], v[174:175], -v[96:97]
	;; [unrolled: 1-line block ×3, first 2 shown]
	v_mul_f64_e32 v[162:163], s[12:13], v[114:115]
	v_add_f64_e64 v[98:99], v[172:173], -v[98:99]
	v_add_f64_e64 v[102:103], v[168:169], -v[102:103]
	;; [unrolled: 1-line block ×3, first 2 shown]
	v_mul_f64_e32 v[104:105], s[16:17], v[124:125]
	v_mul_f64_e32 v[166:167], s[12:13], v[124:125]
	;; [unrolled: 1-line block ×4, first 2 shown]
	v_add_f64_e32 v[154:155], v[154:155], v[60:61]
	v_add_f64_e32 v[90:91], v[4:5], v[90:91]
	;; [unrolled: 1-line block ×7, first 2 shown]
	v_add_f64_e64 v[36:37], v[158:159], -v[36:37]
	v_add_f64_e64 v[106:107], v[160:161], -v[106:107]
	;; [unrolled: 1-line block ×8, first 2 shown]
	v_mul_f64_e32 v[104:105], s[10:11], v[150:151]
	v_add_f64_e32 v[154:155], v[154:155], v[70:71]
	v_add_f64_e32 v[90:91], v[100:101], v[90:91]
	;; [unrolled: 1-line block ×7, first 2 shown]
	v_mul_f64_e32 v[94:95], s[4:5], v[132:133]
	v_mul_f64_e32 v[96:97], s[10:11], v[132:133]
	;; [unrolled: 1-line block ×5, first 2 shown]
	v_add_f64_e64 v[104:105], v[104:105], -v[144:145]
	v_add_f64_e32 v[154:155], v[154:155], v[76:77]
	v_add_f64_e32 v[90:91], v[108:109], v[90:91]
	;; [unrolled: 1-line block ×5, first 2 shown]
	v_mul_f64_e32 v[84:85], s[12:13], v[150:151]
	v_mul_f64_e32 v[106:107], s[14:15], v[150:151]
	v_add_f64_e64 v[94:95], v[94:95], -v[128:129]
	v_add_f64_e64 v[96:97], v[96:97], -v[130:131]
	;; [unrolled: 1-line block ×4, first 2 shown]
	v_mul_f64_e32 v[108:109], s[4:5], v[150:151]
	v_add_f64_e64 v[102:103], v[102:103], -v[140:141]
	v_add_f64_e32 v[88:89], v[154:155], v[28:29]
	v_mul_f64_e32 v[154:155], s[4:5], v[114:115]
	v_mul_f64_e32 v[114:115], s[16:17], v[114:115]
	v_add_f64_e32 v[90:91], v[120:121], v[90:91]
	v_add_f64_e32 v[86:87], v[118:119], v[86:87]
	;; [unrolled: 1-line block ×4, first 2 shown]
	v_add_f64_e64 v[54:55], v[106:107], -v[146:147]
	v_add_f64_e64 v[84:85], v[84:85], -v[148:149]
	v_add_f64_e32 v[44:45], v[88:89], v[74:75]
	v_mul_f64_e32 v[88:89], s[14:15], v[124:125]
	v_mul_f64_e32 v[124:125], s[10:11], v[124:125]
	v_add_f64_e64 v[112:113], v[114:115], -v[112:113]
	v_add_f64_e64 v[34:35], v[154:155], -v[34:35]
	v_add_f64_e32 v[90:91], v[100:101], v[90:91]
	v_add_f64_e32 v[86:87], v[96:97], v[86:87]
	;; [unrolled: 1-line block ×5, first 2 shown]
	v_add_f64_e64 v[16:17], v[88:89], -v[16:17]
	v_add_f64_e64 v[114:115], v[124:125], -v[122:123]
	v_add_f64_e32 v[88:89], v[112:113], v[92:93]
	v_mul_f64_e32 v[44:45], s[16:17], v[132:133]
	v_add_f64_e32 v[4:5], v[34:35], v[4:5]
	v_mul_f64_e32 v[92:93], s[16:17], v[150:151]
	v_add_f64_e32 v[30:31], v[84:85], v[30:31]
	v_add_f64_e32 v[36:37], v[104:105], v[36:37]
	v_add_f64_e32 v[34:35], v[38:39], v[72:73]
	v_mul_f64_e32 v[38:39], s[18:19], v[150:151]
	v_add_f64_e32 v[88:89], v[114:115], v[88:89]
	v_add_f64_e64 v[44:45], v[44:45], -v[126:127]
	v_add_f64_e32 v[4:5], v[16:17], v[4:5]
	v_add_f64_e64 v[92:93], v[92:93], -v[142:143]
	;; [unrolled: 2-line block ×3, first 2 shown]
	v_add_f64_e64 v[38:39], v[38:39], -v[136:137]
	v_add_f64_e32 v[88:89], v[102:103], v[88:89]
	v_add_f64_e32 v[4:5], v[44:45], v[4:5]
	;; [unrolled: 1-line block ×7, first 2 shown]
	v_mul_u32_u24_e32 v38, 0x410, v65
	s_delay_alu instid0(VALU_DEP_1)
	v_add3_u32 v38, 0, v38, v157
	v_add_f64_e32 v[16:17], v[16:17], v[80:81]
	ds_store_2addr_b64 v38, v[14:15], v[12:13] offset0:80 offset1:90
	ds_store_2addr_b64 v38, v[10:11], v[8:9] offset0:100 offset1:110
	;; [unrolled: 1-line block ×5, first 2 shown]
	ds_store_2addr_b64 v38, v[16:17], v[4:5] offset1:10
	ds_store_b64 v38, v[6:7] offset:960
.LBB0_19:
	s_wait_alu 0xfffe
	s_or_b32 exec_lo, exec_lo, s1
	v_lshl_add_u32 v156, v64, 3, 0
	global_wb scope:SCOPE_SE
	s_wait_dscnt 0x0
	s_barrier_signal -1
	s_barrier_wait -1
	global_inv scope:SCOPE_SE
	ds_load_b64 v[16:17], v156
	ds_load_b64 v[36:37], v156 offset:2080
	ds_load_b64 v[38:39], v156 offset:4160
	ds_load_b64 v[34:35], v156 offset:6240
	ds_load_b64 v[30:31], v156 offset:8320
	ds_load_b64 v[44:45], v156 offset:10400
	ds_load_b64 v[54:55], v156 offset:12480
	v_cmp_gt_u32_e64 s1, 0x4e, v64
                                        ; implicit-def: $vgpr4_vgpr5
	s_delay_alu instid0(VALU_DEP_1)
	s_and_saveexec_b32 s4, s1
	s_cbranch_execz .LBB0_21
; %bb.20:
	ds_load_b64 v[2:3], v156 offset:1456
	ds_load_b64 v[14:15], v156 offset:3536
	;; [unrolled: 1-line block ×7, first 2 shown]
.LBB0_21:
	s_wait_alu 0xfffe
	s_or_b32 exec_lo, exec_lo, s4
	v_add_f64_e64 v[82:83], v[82:83], -v[80:81]
	s_mov_b32 s22, 0x42a4c3d2
	s_mov_b32 s24, 0x2ef20147
	;; [unrolled: 1-line block ×9, first 2 shown]
	v_add_f64_e32 v[80:81], v[50:51], v[48:49]
	v_add_f64_e64 v[56:57], v[56:57], -v[58:59]
	s_mov_b32 s4, 0xebaa3ed8
	s_mov_b32 s5, 0x3fbedb7d
	s_wait_alu 0xfffe
	s_mov_b32 s36, s26
	s_mov_b32 s34, s30
	v_add_f64_e32 v[94:95], v[52:53], v[40:41]
	v_add_f64_e64 v[58:59], v[60:61], -v[68:69]
	s_mov_b32 s39, 0x3fedeba7
	s_mov_b32 s38, s24
	v_add_f64_e32 v[118:119], v[46:47], v[42:43]
	v_add_f64_e64 v[70:71], v[70:71], -v[72:73]
	s_mov_b32 s40, s22
	v_add_f64_e64 v[146:147], v[76:77], -v[78:79]
	v_add_f64_e32 v[150:151], v[24:25], v[22:23]
	v_add_f64_e64 v[28:29], v[28:29], -v[74:75]
	global_wb scope:SCOPE_SE
	s_wait_dscnt 0x0
	s_barrier_signal -1
	s_barrier_wait -1
	global_inv scope:SCOPE_SE
	v_mul_f64_e32 v[92:93], s[20:21], v[82:83]
	v_mul_f64_e32 v[90:91], s[22:23], v[82:83]
	;; [unrolled: 1-line block ×6, first 2 shown]
	s_mov_b32 s21, 0x3fddbe06
	v_mul_f64_e32 v[106:107], s[22:23], v[56:57]
	v_mul_f64_e32 v[104:105], s[24:25], v[56:57]
	;; [unrolled: 1-line block ×3, first 2 shown]
	s_wait_alu 0xfffe
	v_mul_f64_e32 v[98:99], s[36:37], v[56:57]
	v_mul_f64_e32 v[100:101], s[34:35], v[56:57]
	;; [unrolled: 1-line block ×9, first 2 shown]
	s_mov_b32 s39, 0x3fcea1e5
	s_mov_b32 s38, s28
	v_mul_f64_e32 v[126:127], s[24:25], v[70:71]
	s_wait_alu 0xfffe
	v_mul_f64_e32 v[78:79], s[38:39], v[70:71]
	v_mul_f64_e32 v[76:77], s[40:41], v[70:71]
	;; [unrolled: 1-line block ×4, first 2 shown]
	v_fma_f64 v[56:57], v[80:81], s[12:13], -v[92:93]
	v_fma_f64 v[60:61], v[80:81], s[10:11], -v[90:91]
	v_fma_f64 v[68:69], v[80:81], s[4:5], -v[88:89]
	v_fma_f64 v[120:121], v[80:81], s[14:15], -v[86:87]
	v_fma_f64 v[122:123], v[80:81], s[16:17], -v[84:85]
	v_fma_f64 v[124:125], v[80:81], s[18:19], -v[82:83]
	v_fma_f64 v[58:59], v[94:95], s[10:11], -v[106:107]
	v_fma_f64 v[130:131], v[94:95], s[14:15], -v[104:105]
	v_fma_f64 v[132:133], v[94:95], s[18:19], -v[102:103]
	v_fma_f64 v[134:135], v[94:95], s[16:17], -v[98:99]
	v_fma_f64 v[136:137], v[94:95], s[4:5], -v[100:101]
	v_fma_f64 v[138:139], v[94:95], s[12:13], -v[96:97]
	v_fma_f64 v[148:149], v[118:119], s[18:19], -v[112:113]
	v_fma_f64 v[152:153], v[118:119], s[14:15], -v[110:111]
	v_fma_f64 v[154:155], v[118:119], s[10:11], -v[108:109]
	v_fma_f64 v[158:159], v[118:119], s[16:17], -v[72:73]
	v_fma_f64 v[160:161], v[118:119], s[12:13], -v[114:115]
	v_fma_f64 v[178:179], v[150:151], s[14:15], -v[74:75]
	v_add_f64_e32 v[56:57], v[0:1], v[56:57]
	v_add_f64_e32 v[60:61], v[0:1], v[60:61]
	;; [unrolled: 1-line block ×7, first 2 shown]
	v_mul_f64_e32 v[124:125], s[36:37], v[70:71]
	v_mul_f64_e32 v[120:121], s[30:31], v[70:71]
	v_fma_f64 v[70:71], v[118:119], s[4:5], -v[116:117]
	v_add_f64_e32 v[56:57], v[58:59], v[56:57]
	v_add_f64_e32 v[58:59], v[130:131], v[60:61]
	;; [unrolled: 1-line block ×6, first 2 shown]
	v_mul_f64_e32 v[138:139], s[26:27], v[146:147]
	v_mul_f64_e32 v[136:137], s[34:35], v[146:147]
	;; [unrolled: 1-line block ×5, first 2 shown]
	v_fma_f64 v[162:163], v[122:123], s[14:15], -v[126:127]
	v_fma_f64 v[164:165], v[122:123], s[16:17], -v[124:125]
	v_fma_f64 v[166:167], v[122:123], s[4:5], -v[120:121]
	v_fma_f64 v[168:169], v[122:123], s[18:19], -v[78:79]
	v_fma_f64 v[170:171], v[122:123], s[10:11], -v[76:77]
	v_fma_f64 v[172:173], v[122:123], s[12:13], -v[128:129]
	v_mul_f64_e32 v[144:145], s[40:41], v[28:29]
	v_mul_f64_e32 v[146:147], s[24:25], v[28:29]
	v_add_f64_e32 v[56:57], v[70:71], v[56:57]
	v_add_f64_e32 v[58:59], v[148:149], v[58:59]
	;; [unrolled: 1-line block ×7, first 2 shown]
	v_mul_f64_e32 v[140:141], s[28:29], v[28:29]
	v_mul_f64_e32 v[142:143], s[26:27], v[28:29]
	;; [unrolled: 1-line block ×4, first 2 shown]
	v_fma_f64 v[28:29], v[150:151], s[16:17], -v[138:139]
	v_fma_f64 v[160:161], v[150:151], s[4:5], -v[136:137]
	;; [unrolled: 1-line block ×5, first 2 shown]
	v_add_f64_e32 v[56:57], v[162:163], v[56:57]
	v_add_f64_e32 v[58:59], v[164:165], v[58:59]
	v_add_f64_e32 v[60:61], v[172:173], v[60:61]
	v_add_f64_e32 v[68:69], v[166:167], v[68:69]
	v_add_f64_e32 v[70:71], v[168:169], v[70:71]
	v_add_f64_e32 v[158:159], v[170:171], v[158:159]
	v_fma_f64 v[166:167], v[154:155], s[10:11], -v[144:145]
	v_fma_f64 v[162:163], v[154:155], s[18:19], -v[140:141]
	;; [unrolled: 1-line block ×6, first 2 shown]
	v_add_f64_e32 v[28:29], v[28:29], v[56:57]
	v_add_f64_e32 v[58:59], v[160:161], v[58:59]
	;; [unrolled: 1-line block ×12, first 2 shown]
	s_and_saveexec_b32 s20, s0
	s_cbranch_execz .LBB0_23
; %bb.22:
	v_add_f64_e32 v[50:51], v[0:1], v[50:51]
	v_mul_f64_e32 v[158:159], s[14:15], v[80:81]
	v_mul_f64_e32 v[160:161], s[16:17], v[80:81]
	;; [unrolled: 1-line block ×6, first 2 shown]
	v_add_f64_e32 v[50:51], v[50:51], v[52:53]
	v_mul_f64_e32 v[52:53], s[4:5], v[80:81]
	v_add_f64_e32 v[86:87], v[86:87], v[158:159]
	v_add_f64_e32 v[84:85], v[84:85], v[160:161]
	;; [unrolled: 1-line block ×6, first 2 shown]
	v_mul_f64_e32 v[158:159], s[18:19], v[122:123]
	v_add_f64_e32 v[46:47], v[50:51], v[46:47]
	v_mul_f64_e32 v[50:51], s[10:11], v[80:81]
	v_add_f64_e32 v[52:53], v[88:89], v[52:53]
	;; [unrolled: 2-line block ×3, first 2 shown]
	v_add_f64_e32 v[84:85], v[0:1], v[84:85]
	v_add_f64_e32 v[78:79], v[78:79], v[158:159]
	;; [unrolled: 1-line block ×3, first 2 shown]
	v_mul_f64_e32 v[46:47], s[12:13], v[80:81]
	v_mul_f64_e32 v[80:81], s[18:19], v[80:81]
	v_add_f64_e32 v[50:51], v[90:91], v[50:51]
	v_add_f64_e32 v[52:53], v[0:1], v[52:53]
	v_mul_f64_e32 v[90:91], s[12:13], v[118:119]
	v_add_f64_e32 v[88:89], v[110:111], v[88:89]
	v_add_f64_e32 v[84:85], v[100:101], v[84:85]
	v_mul_f64_e32 v[100:101], s[12:13], v[150:151]
	v_add_f64_e32 v[24:25], v[26:27], v[24:25]
	v_mul_f64_e32 v[26:27], s[10:11], v[94:95]
	;; [unrolled: 2-line block ×5, first 2 shown]
	v_add_f64_e32 v[90:91], v[114:115], v[90:91]
	v_add_f64_e32 v[24:25], v[24:25], v[32:33]
	v_mul_f64_e32 v[32:33], s[4:5], v[118:119]
	v_add_f64_e32 v[26:27], v[106:107], v[26:27]
	v_add_f64_e32 v[46:47], v[0:1], v[46:47]
	v_mul_f64_e32 v[118:119], s[16:17], v[118:119]
	;; [unrolled: 3-line block ×3, first 2 shown]
	v_mul_f64_e32 v[96:97], s[12:13], v[122:123]
	v_add_f64_e32 v[82:83], v[112:113], v[82:83]
	v_mul_f64_e32 v[106:107], s[4:5], v[122:123]
	v_add_f64_e32 v[92:93], v[108:109], v[92:93]
	v_add_f64_e32 v[18:19], v[24:25], v[18:19]
	v_mul_f64_e32 v[24:25], s[14:15], v[122:123]
	v_add_f64_e32 v[32:33], v[116:117], v[32:33]
	v_add_f64_e32 v[26:27], v[26:27], v[46:47]
	;; [unrolled: 1-line block ×5, first 2 shown]
	v_mul_f64_e32 v[122:123], s[10:11], v[122:123]
	v_add_f64_e32 v[72:73], v[72:73], v[118:119]
	v_add_f64_e32 v[0:1], v[94:95], v[0:1]
	v_mul_f64_e32 v[86:87], s[4:5], v[150:151]
	v_mul_f64_e32 v[94:95], s[10:11], v[150:151]
	v_add_f64_e32 v[80:81], v[124:125], v[80:81]
	v_add_f64_e32 v[96:97], v[128:129], v[96:97]
	v_mul_f64_e32 v[98:99], s[18:19], v[150:151]
	v_add_f64_e32 v[104:105], v[120:121], v[106:107]
	v_mul_f64_e32 v[102:103], s[14:15], v[150:151]
	;; [unrolled: 2-line block ×3, first 2 shown]
	v_add_f64_e32 v[24:25], v[126:127], v[24:25]
	v_add_f64_e32 v[26:27], v[32:33], v[26:27]
	;; [unrolled: 1-line block ×8, first 2 shown]
	v_mul_f64_e32 v[72:73], s[12:13], v[154:155]
	v_mul_f64_e32 v[82:83], s[16:17], v[154:155]
	v_add_f64_e32 v[86:87], v[136:137], v[86:87]
	v_add_f64_e32 v[92:93], v[134:135], v[94:95]
	v_mul_f64_e32 v[84:85], s[10:11], v[154:155]
	v_mul_f64_e32 v[88:89], s[14:15], v[154:155]
	v_add_f64_e32 v[94:95], v[130:131], v[98:99]
	v_add_f64_e32 v[98:99], v[132:133], v[100:101]
	v_mul_f64_e32 v[90:91], s[4:5], v[154:155]
	v_add_f64_e32 v[74:75], v[74:75], v[102:103]
	v_add_f64_e32 v[18:19], v[18:19], v[20:21]
	;; [unrolled: 3-line block ×3, first 2 shown]
	v_add_f64_e32 v[26:27], v[80:81], v[32:33]
	v_add_f64_e32 v[32:33], v[96:97], v[46:47]
	;; [unrolled: 1-line block ×19, first 2 shown]
	v_mul_u32_u24_e32 v40, 0x410, v65
	v_add_f64_e32 v[20:21], v[20:21], v[22:23]
	v_add_f64_e32 v[22:23], v[42:43], v[24:25]
	;; [unrolled: 1-line block ×3, first 2 shown]
	s_delay_alu instid0(VALU_DEP_4)
	v_add3_u32 v40, 0, v40, v157
	v_add_f64_e32 v[26:27], v[72:73], v[32:33]
	v_add_f64_e32 v[32:33], v[76:77], v[46:47]
	;; [unrolled: 1-line block ×4, first 2 shown]
	ds_store_2addr_b64 v40, v[70:71], v[68:69] offset0:80 offset1:90
	ds_store_2addr_b64 v40, v[60:61], v[58:59] offset0:100 offset1:110
	;; [unrolled: 1-line block ×5, first 2 shown]
	ds_store_2addr_b64 v40, v[18:19], v[20:21] offset1:10
	ds_store_b64 v40, v[56:57] offset:960
.LBB0_23:
	s_wait_alu 0xfffe
	s_or_b32 exec_lo, exec_lo, s20
	global_wb scope:SCOPE_SE
	s_wait_dscnt 0x0
	s_barrier_signal -1
	s_barrier_wait -1
	global_inv scope:SCOPE_SE
	ds_load_b64 v[0:1], v156
	ds_load_b64 v[42:43], v156 offset:2080
	ds_load_b64 v[26:27], v156 offset:4160
	;; [unrolled: 1-line block ×6, first 2 shown]
                                        ; implicit-def: $vgpr18_vgpr19
	s_and_saveexec_b32 s0, s1
	s_cbranch_execz .LBB0_25
; %bb.24:
	ds_load_b64 v[28:29], v156 offset:1456
	ds_load_b64 v[70:71], v156 offset:3536
	;; [unrolled: 1-line block ×7, first 2 shown]
.LBB0_25:
	s_wait_alu 0xfffe
	s_or_b32 exec_lo, exec_lo, s0
	v_dual_mov_b32 v21, 0 :: v_dual_add_nc_u32 v20, 0xffffff7e, v64
	v_cmp_gt_u32_e64 s0, 0x82, v64
	s_mov_b32 s4, 0x37e14327
	s_mov_b32 s12, 0xe976ee23
	;; [unrolled: 1-line block ×4, first 2 shown]
	s_wait_alu 0xf1ff
	v_cndmask_b32_e64 v65, v20, v64, s0
	s_mov_b32 s13, 0xbfe11646
	s_mov_b32 s10, 0x429ad128
	;; [unrolled: 1-line block ×4, first 2 shown]
	v_mul_i32_i24_e32 v20, 6, v65
	s_mov_b32 s16, 0xaaaaaaaa
	s_mov_b32 s18, 0x5476071b
	;; [unrolled: 1-line block ×4, first 2 shown]
	v_lshlrev_b64_e32 v[20:21], 4, v[20:21]
	s_mov_b32 s19, 0x3fe77f67
	s_mov_b32 s21, 0xbfe77f67
	;; [unrolled: 1-line block ×3, first 2 shown]
	s_wait_alu 0xfffe
	s_mov_b32 s20, s18
	s_mov_b32 s25, 0xbfd5d0dc
	v_add_co_u32 v20, s0, s8, v20
	s_wait_alu 0xf1ff
	v_add_co_ci_u32_e64 v21, s0, s9, v21, s0
	s_mov_b32 s24, s22
	s_clause 0x5
	global_load_b128 v[72:75], v[20:21], off offset:1920
	global_load_b128 v[76:79], v[20:21], off offset:1936
	;; [unrolled: 1-line block ×6, first 2 shown]
	v_add_nc_u32_e32 v20, 0xb6, v64
	s_mov_b32 s26, 0x37c3f68c
	s_mov_b32 s27, 0x3fdc38aa
	v_cmp_lt_u32_e64 s0, 0x81, v64
	s_delay_alu instid0(VALU_DEP_2) | instskip(NEXT) | instid1(VALU_DEP_1)
	v_and_b32_e32 v21, 0xffff, v20
	v_mul_u32_u24_e32 v21, 0xfc1, v21
	s_delay_alu instid0(VALU_DEP_1) | instskip(NEXT) | instid1(VALU_DEP_1)
	v_lshrrev_b32_e32 v21, 19, v21
	v_mul_lo_u16 v21, 0x82, v21
	s_delay_alu instid0(VALU_DEP_1) | instskip(NEXT) | instid1(VALU_DEP_1)
	v_sub_nc_u16 v20, v20, v21
	v_and_b32_e32 v124, 0xffff, v20
	s_delay_alu instid0(VALU_DEP_1) | instskip(NEXT) | instid1(VALU_DEP_1)
	v_mul_u32_u24_e32 v20, 6, v124
	v_lshlrev_b32_e32 v20, 4, v20
	s_clause 0x5
	global_load_b128 v[96:99], v20, s[8:9] offset:1920
	global_load_b128 v[100:103], v20, s[8:9] offset:1936
	;; [unrolled: 1-line block ×6, first 2 shown]
	global_wb scope:SCOPE_SE
	s_wait_loadcnt_dscnt 0x0
	s_barrier_signal -1
	s_barrier_wait -1
	global_inv scope:SCOPE_SE
	v_mul_f64_e32 v[20:21], v[42:43], v[74:75]
	v_mul_f64_e32 v[22:23], v[26:27], v[78:79]
	;; [unrolled: 1-line block ×12, first 2 shown]
	v_fma_f64 v[20:21], v[36:37], v[72:73], -v[20:21]
	v_fma_f64 v[24:25], v[38:39], v[76:77], -v[22:23]
	;; [unrolled: 1-line block ×4, first 2 shown]
	v_fma_f64 v[36:37], v[26:27], v[76:77], v[78:79]
	v_fma_f64 v[26:27], v[34:35], v[88:89], -v[120:121]
	v_fma_f64 v[34:35], v[40:41], v[88:89], v[90:91]
	v_fma_f64 v[30:31], v[30:31], v[92:93], -v[122:123]
	v_fma_f64 v[40:41], v[50:51], v[84:85], v[86:87]
	v_fma_f64 v[38:39], v[46:47], v[92:93], v[94:95]
	;; [unrolled: 1-line block ×4, first 2 shown]
	v_mul_f64_e32 v[84:85], v[12:13], v[102:103]
	v_mul_f64_e32 v[86:87], v[60:61], v[106:107]
	;; [unrolled: 1-line block ×6, first 2 shown]
	v_add_f64_e32 v[46:47], v[20:21], v[22:23]
	v_add_f64_e32 v[48:49], v[24:25], v[32:33]
	;; [unrolled: 1-line block ×3, first 2 shown]
	v_add_f64_e64 v[50:51], v[36:37], -v[40:41]
	v_add_f64_e64 v[54:55], v[38:39], -v[34:35]
	;; [unrolled: 1-line block ×3, first 2 shown]
	v_fma_f64 v[60:61], v[60:61], v[104:105], v[88:89]
	v_fma_f64 v[58:59], v[58:59], v[108:109], v[92:93]
	v_add_f64_e32 v[74:75], v[48:49], v[46:47]
	v_add_f64_e64 v[76:77], v[46:47], -v[52:53]
	v_add_f64_e64 v[46:47], v[48:49], -v[46:47]
	;; [unrolled: 1-line block ×4, first 2 shown]
	v_add_f64_e32 v[50:51], v[54:55], v[50:51]
	v_add_f64_e64 v[54:55], v[72:73], -v[54:55]
	v_add_f64_e32 v[74:75], v[52:53], v[74:75]
	v_add_f64_e64 v[52:53], v[52:53], -v[48:49]
	v_mul_f64_e32 v[76:77], s[4:5], v[76:77]
	v_mul_f64_e32 v[78:79], s[12:13], v[78:79]
	;; [unrolled: 1-line block ×3, first 2 shown]
	v_add_f64_e32 v[50:51], v[50:51], v[72:73]
	v_add_f64_e32 v[16:17], v[16:17], v[74:75]
	v_mul_f64_e32 v[48:49], s[14:15], v[52:53]
	v_fma_f64 v[52:53], v[52:53], s[14:15], v[76:77]
	s_wait_alu 0xfffe
	v_fma_f64 v[76:77], v[46:47], s[20:21], -v[76:77]
	v_fma_f64 v[72:73], v[54:55], s[22:23], v[78:79]
	v_fma_f64 v[78:79], v[80:81], s[10:11], -v[78:79]
	v_fma_f64 v[54:55], v[54:55], s[24:25], -v[82:83]
	v_mul_f64_e32 v[80:81], v[14:15], v[98:99]
	v_mul_f64_e32 v[82:83], v[68:69], v[102:103]
	;; [unrolled: 1-line block ×4, first 2 shown]
	v_fma_f64 v[68:69], v[68:69], v[100:101], v[84:85]
	v_fma_f64 v[74:75], v[74:75], s[16:17], v[16:17]
	v_fma_f64 v[46:47], v[46:47], s[18:19], -v[48:49]
	v_mul_f64_e32 v[48:49], v[70:71], v[98:99]
	v_mul_f64_e32 v[98:99], v[6:7], v[114:115]
	v_fma_f64 v[106:107], v[50:51], s[26:27], v[72:73]
	v_fma_f64 v[78:79], v[50:51], s[26:27], v[78:79]
	;; [unrolled: 1-line block ×4, first 2 shown]
	v_fma_f64 v[50:51], v[10:11], v[104:105], -v[86:87]
	v_fma_f64 v[70:71], v[6:7], v[112:113], -v[94:95]
	v_add_f64_e32 v[114:115], v[52:53], v[74:75]
	v_add_f64_e32 v[76:77], v[76:77], v[74:75]
	;; [unrolled: 1-line block ×3, first 2 shown]
	v_fma_f64 v[46:47], v[14:15], v[96:97], -v[48:49]
	v_fma_f64 v[48:49], v[12:13], v[100:101], -v[82:83]
	;; [unrolled: 1-line block ×3, first 2 shown]
	v_fma_f64 v[72:73], v[56:57], v[112:113], v[98:99]
	v_fma_f64 v[56:57], v[4:5], v[116:117], -v[102:103]
	v_add_f64_e32 v[4:5], v[106:107], v[114:115]
	v_add_f64_e32 v[6:7], v[110:111], v[76:77]
	v_add_f64_e64 v[8:9], v[74:75], -v[78:79]
	v_add_f64_e32 v[10:11], v[78:79], v[74:75]
	v_fma_f64 v[74:75], v[18:19], v[116:117], v[118:119]
	v_add_f64_e64 v[12:13], v[76:77], -v[110:111]
	v_add_f64_e64 v[14:15], v[114:115], -v[106:107]
	s_wait_alu 0xf1ff
	v_cndmask_b32_e64 v18, 0, 0x1c70, s0
	v_lshlrev_b32_e32 v19, 3, v65
	v_lshl_add_u32 v65, v124, 3, 0
	s_delay_alu instid0(VALU_DEP_2) | instskip(NEXT) | instid1(VALU_DEP_1)
	v_add3_u32 v76, 0, v18, v19
	v_add_nc_u32_e32 v77, 0x800, v76
	v_add_nc_u32_e32 v78, 0x1000, v76
	ds_store_2addr_b64 v76, v[16:17], v[4:5] offset1:130
	ds_store_2addr_b64 v77, v[6:7], v[8:9] offset0:4 offset1:134
	ds_store_2addr_b64 v78, v[10:11], v[12:13] offset0:8 offset1:138
	ds_store_b64 v76, v[14:15] offset:6240
	s_and_saveexec_b32 s0, s1
	s_cbranch_execz .LBB0_27
; %bb.26:
	v_add_f64_e32 v[4:5], v[48:49], v[70:71]
	v_add_f64_e32 v[6:7], v[46:47], v[56:57]
	v_add_f64_e64 v[8:9], v[58:59], -v[60:61]
	v_add_f64_e64 v[10:11], v[68:69], -v[72:73]
	v_add_f64_e32 v[12:13], v[50:51], v[52:53]
	v_add_f64_e64 v[14:15], v[54:55], -v[74:75]
	v_add_f64_e32 v[16:17], v[4:5], v[6:7]
	s_delay_alu instid0(VALU_DEP_4) | instskip(NEXT) | instid1(VALU_DEP_4)
	v_add_f64_e64 v[18:19], v[8:9], -v[10:11]
	v_add_f64_e64 v[79:80], v[6:7], -v[12:13]
	s_delay_alu instid0(VALU_DEP_4)
	v_add_f64_e64 v[81:82], v[10:11], -v[14:15]
	v_add_f64_e32 v[10:11], v[8:9], v[10:11]
	v_add_f64_e64 v[8:9], v[14:15], -v[8:9]
	v_add_f64_e32 v[16:17], v[12:13], v[16:17]
	v_add_f64_e64 v[12:13], v[12:13], -v[4:5]
	v_add_f64_e64 v[4:5], v[4:5], -v[6:7]
	v_mul_f64_e32 v[6:7], s[12:13], v[18:19]
	v_mul_f64_e32 v[18:19], s[4:5], v[79:80]
	;; [unrolled: 1-line block ×3, first 2 shown]
	v_add_f64_e32 v[10:11], v[10:11], v[14:15]
	v_add_f64_e32 v[2:3], v[2:3], v[16:17]
	v_mul_f64_e32 v[83:84], s[14:15], v[12:13]
	v_fma_f64 v[14:15], v[8:9], s[22:23], v[6:7]
	v_fma_f64 v[12:13], v[12:13], s[14:15], v[18:19]
	v_fma_f64 v[85:86], v[4:5], s[20:21], -v[18:19]
	v_fma_f64 v[8:9], v[8:9], s[24:25], -v[79:80]
	;; [unrolled: 1-line block ×3, first 2 shown]
	v_fma_f64 v[16:17], v[16:17], s[16:17], v[2:3]
	v_fma_f64 v[4:5], v[4:5], s[18:19], -v[83:84]
	v_fma_f64 v[14:15], v[10:11], s[26:27], v[14:15]
	v_fma_f64 v[8:9], v[10:11], s[26:27], v[8:9]
	;; [unrolled: 1-line block ×3, first 2 shown]
	v_add_f64_e32 v[12:13], v[12:13], v[16:17]
	v_add_f64_e32 v[10:11], v[85:86], v[16:17]
	;; [unrolled: 1-line block ×3, first 2 shown]
	s_delay_alu instid0(VALU_DEP_3) | instskip(NEXT) | instid1(VALU_DEP_3)
	v_add_f64_e32 v[79:80], v[14:15], v[12:13]
	v_add_f64_e64 v[16:17], v[10:11], -v[8:9]
	s_delay_alu instid0(VALU_DEP_3)
	v_add_f64_e64 v[18:19], v[4:5], -v[6:7]
	v_add_f64_e32 v[8:9], v[8:9], v[10:11]
	v_add_f64_e32 v[4:5], v[6:7], v[4:5]
	v_add_f64_e64 v[6:7], v[12:13], -v[14:15]
	v_add_nc_u32_e32 v10, 0x1c00, v65
	v_add_nc_u32_e32 v11, 0x2400, v65
	;; [unrolled: 1-line block ×3, first 2 shown]
	ds_store_2addr_b64 v10, v[2:3], v[79:80] offset0:14 offset1:144
	ds_store_2addr_b64 v11, v[8:9], v[18:19] offset0:18 offset1:148
	;; [unrolled: 1-line block ×3, first 2 shown]
	ds_store_b64 v65, v[6:7] offset:13520
.LBB0_27:
	s_wait_alu 0xfffe
	s_or_b32 exec_lo, exec_lo, s0
	v_add_f64_e32 v[2:3], v[42:43], v[44:45]
	v_add_f64_e32 v[4:5], v[36:37], v[40:41]
	v_add_f64_e64 v[6:7], v[24:25], -v[32:33]
	v_add_f64_e32 v[8:9], v[34:35], v[38:39]
	v_add_f64_e64 v[10:11], v[30:31], -v[26:27]
	v_add_f64_e64 v[12:13], v[20:21], -v[22:23]
	global_wb scope:SCOPE_SE
	s_wait_dscnt 0x0
	s_barrier_signal -1
	s_barrier_wait -1
	global_inv scope:SCOPE_SE
	v_add_f64_e32 v[14:15], v[4:5], v[2:3]
	v_add_f64_e64 v[16:17], v[2:3], -v[8:9]
	v_add_f64_e64 v[18:19], v[10:11], -v[6:7]
	;; [unrolled: 1-line block ×3, first 2 shown]
	v_add_f64_e32 v[6:7], v[10:11], v[6:7]
	v_add_f64_e64 v[10:11], v[12:13], -v[10:11]
	v_add_f64_e32 v[14:15], v[8:9], v[14:15]
	v_add_f64_e64 v[8:9], v[8:9], -v[4:5]
	v_mul_f64_e32 v[16:17], s[4:5], v[16:17]
	v_mul_f64_e32 v[18:19], s[12:13], v[18:19]
	;; [unrolled: 1-line block ×3, first 2 shown]
	v_add_f64_e32 v[24:25], v[0:1], v[14:15]
	v_add_f64_e64 v[0:1], v[4:5], -v[2:3]
	v_mul_f64_e32 v[2:3], s[14:15], v[8:9]
	v_add_f64_e32 v[4:5], v[6:7], v[12:13]
	v_fma_f64 v[6:7], v[8:9], s[14:15], v[16:17]
	v_fma_f64 v[8:9], v[10:11], s[22:23], v[18:19]
	v_fma_f64 v[12:13], v[20:21], s[10:11], -v[18:19]
	v_fma_f64 v[10:11], v[10:11], s[24:25], -v[22:23]
	v_fma_f64 v[14:15], v[14:15], s[16:17], v[24:25]
	v_fma_f64 v[16:17], v[0:1], s[20:21], -v[16:17]
	v_fma_f64 v[0:1], v[0:1], s[18:19], -v[2:3]
	v_fma_f64 v[2:3], v[4:5], s[26:27], v[8:9]
	v_fma_f64 v[8:9], v[4:5], s[26:27], v[12:13]
	;; [unrolled: 1-line block ×3, first 2 shown]
	v_add_f64_e32 v[6:7], v[6:7], v[14:15]
	v_add_f64_e32 v[10:11], v[16:17], v[14:15]
	;; [unrolled: 1-line block ×3, first 2 shown]
	v_add_nc_u32_e32 v16, 0x2c00, v156
	s_delay_alu instid0(VALU_DEP_4) | instskip(NEXT) | instid1(VALU_DEP_4)
	v_add_f64_e64 v[20:21], v[6:7], -v[2:3]
	v_add_f64_e64 v[22:23], v[10:11], -v[4:5]
	s_delay_alu instid0(VALU_DEP_4)
	v_add_f64_e32 v[26:27], v[8:9], v[0:1]
	v_add_f64_e64 v[30:31], v[0:1], -v[8:9]
	v_add_f64_e32 v[32:33], v[4:5], v[10:11]
	v_add_f64_e32 v[34:35], v[2:3], v[6:7]
	v_add_nc_u32_e32 v4, 0x1600, v156
	v_add_nc_u32_e32 v5, 0x2000, v156
	;; [unrolled: 1-line block ×3, first 2 shown]
	ds_load_2addr_b64 v[0:3], v156 offset1:182
	ds_load_2addr_b64 v[8:11], v4 offset0:24 offset1:206
	ds_load_2addr_b64 v[12:15], v5 offset0:68 offset1:250
	;; [unrolled: 1-line block ×4, first 2 shown]
	global_wb scope:SCOPE_SE
	s_wait_dscnt 0x0
	s_barrier_signal -1
	s_barrier_wait -1
	global_inv scope:SCOPE_SE
	ds_store_2addr_b64 v76, v[24:25], v[20:21] offset1:130
	ds_store_2addr_b64 v77, v[22:23], v[26:27] offset0:4 offset1:134
	ds_store_2addr_b64 v78, v[30:31], v[32:33] offset0:8 offset1:138
	ds_store_b64 v76, v[34:35] offset:6240
	s_and_saveexec_b32 s0, s1
	s_cbranch_execz .LBB0_29
; %bb.28:
	v_add_f64_e32 v[20:21], v[54:55], v[74:75]
	v_add_f64_e32 v[22:23], v[68:69], v[72:73]
	;; [unrolled: 1-line block ×3, first 2 shown]
	v_add_f64_e64 v[26:27], v[48:49], -v[70:71]
	v_add_f64_e64 v[30:31], v[52:53], -v[50:51]
	;; [unrolled: 1-line block ×3, first 2 shown]
	s_mov_b32 s10, 0x36b3c0b5
	s_mov_b32 s11, 0x3fac98ee
	;; [unrolled: 1-line block ×6, first 2 shown]
	v_add_f64_e32 v[34:35], v[22:23], v[20:21]
	v_add_f64_e64 v[36:37], v[20:21], -v[24:25]
	v_add_f64_e64 v[38:39], v[24:25], -v[22:23]
	;; [unrolled: 1-line block ×5, first 2 shown]
	v_add_f64_e32 v[22:23], v[30:31], v[26:27]
	v_add_f64_e64 v[26:27], v[32:33], -v[30:31]
	v_add_f64_e32 v[24:25], v[24:25], v[34:35]
	v_mul_f64_e32 v[30:31], s[4:5], v[36:37]
	s_mov_b32 s4, 0x429ad128
	v_mul_f64_e32 v[36:37], s[12:13], v[40:41]
	s_mov_b32 s5, 0x3febfeb5
	s_wait_alu 0xfffe
	v_mul_f64_e32 v[34:35], s[10:11], v[38:39]
	v_mul_f64_e32 v[40:41], s[4:5], v[42:43]
	s_mov_b32 s12, 0xaaaaaaaa
	s_mov_b32 s13, 0xbff2aaaa
	v_add_f64_e32 v[22:23], v[22:23], v[32:33]
	v_add_f64_e32 v[28:29], v[28:29], v[24:25]
	v_fma_f64 v[32:33], v[38:39], s[10:11], v[30:31]
	v_fma_f64 v[38:39], v[26:27], s[16:17], v[36:37]
	s_mov_b32 s17, 0xbfd5d0dc
	v_fma_f64 v[34:35], v[20:21], s[14:15], -v[34:35]
	s_mov_b32 s15, 0xbfe77f67
	v_fma_f64 v[36:37], v[42:43], s[4:5], -v[36:37]
	s_wait_alu 0xfffe
	v_fma_f64 v[26:27], v[26:27], s[16:17], -v[40:41]
	v_fma_f64 v[20:21], v[20:21], s[14:15], -v[30:31]
	s_mov_b32 s4, 0x37c3f68c
	s_mov_b32 s5, 0x3fdc38aa
	v_fma_f64 v[24:25], v[24:25], s[12:13], v[28:29]
	s_wait_alu 0xfffe
	v_fma_f64 v[30:31], v[22:23], s[4:5], v[38:39]
	v_fma_f64 v[36:37], v[22:23], s[4:5], v[36:37]
	;; [unrolled: 1-line block ×3, first 2 shown]
	s_delay_alu instid0(VALU_DEP_4) | instskip(SKIP_2) | instid1(VALU_DEP_3)
	v_add_f64_e32 v[26:27], v[32:33], v[24:25]
	v_add_f64_e32 v[20:21], v[20:21], v[24:25]
	;; [unrolled: 1-line block ×3, first 2 shown]
	v_add_f64_e64 v[32:33], v[26:27], -v[30:31]
	s_delay_alu instid0(VALU_DEP_3) | instskip(NEXT) | instid1(VALU_DEP_3)
	v_add_f64_e64 v[34:35], v[20:21], -v[22:23]
	v_add_f64_e32 v[38:39], v[36:37], v[24:25]
	v_add_f64_e64 v[24:25], v[24:25], -v[36:37]
	v_add_f64_e32 v[20:21], v[22:23], v[20:21]
	v_add_f64_e32 v[22:23], v[30:31], v[26:27]
	v_add_nc_u32_e32 v26, 0x1c00, v65
	v_add_nc_u32_e32 v27, 0x2400, v65
	;; [unrolled: 1-line block ×3, first 2 shown]
	ds_store_2addr_b64 v26, v[28:29], v[32:33] offset0:14 offset1:144
	ds_store_2addr_b64 v27, v[34:35], v[38:39] offset0:18 offset1:148
	;; [unrolled: 1-line block ×3, first 2 shown]
	ds_store_b64 v65, v[22:23] offset:13520
.LBB0_29:
	s_wait_alu 0xfffe
	s_or_b32 exec_lo, exec_lo, s0
	global_wb scope:SCOPE_SE
	s_wait_dscnt 0x0
	s_barrier_signal -1
	s_barrier_wait -1
	global_inv scope:SCOPE_SE
	s_and_saveexec_b32 s0, vcc_lo
	s_cbranch_execz .LBB0_31
; %bb.30:
	v_dual_mov_b32 v65, 0 :: v_dual_add_nc_u32 v40, 0x2c00, v156
	v_add_nc_u32_e32 v44, 0x1600, v156
	v_add_nc_u32_e32 v48, 0x2000, v156
	v_add_nc_u32_e32 v56, 0xa00, v156
	s_delay_alu instid0(VALU_DEP_4)
	v_lshlrev_b64_e32 v[20:21], 4, v[64:65]
	v_mov_b32_e32 v77, v65
	v_lshrrev_b32_e32 v76, 1, v64
	v_mul_lo_u32 v78, s3, v66
	v_mul_lo_u32 v79, s2, v67
	v_mad_co_u64_u32 v[66:67], null, s2, v66, 0
	v_add_co_u32 v36, vcc_lo, s8, v20
	s_wait_alu 0xfffd
	v_add_co_ci_u32_e32 v37, vcc_lo, s9, v21, vcc_lo
	v_add_nc_u32_e32 v81, 0x16c, v64
	v_add_nc_u32_e32 v82, 0x222, v64
	s_clause 0x4
	global_load_b128 v[20:23], v[36:37], off offset:26048
	global_load_b128 v[24:27], v[36:37], off offset:23136
	;; [unrolled: 1-line block ×5, first 2 shown]
	ds_load_2addr_b64 v[40:43], v40 offset0:48 offset1:230
	ds_load_2addr_b64 v[44:47], v44 offset0:24 offset1:206
	;; [unrolled: 1-line block ×3, first 2 shown]
	ds_load_2addr_b64 v[52:55], v156 offset1:182
	v_mul_hi_u32 v84, 0x90090091, v76
	v_mov_b32_e32 v76, v65
	v_add3_u32 v67, v67, v79, v78
	v_add_nc_u32_e32 v80, 0xb6, v64
	v_add_nc_u32_e32 v83, 0x2d8, v64
	v_lshlrev_b64_e32 v[62:63], 4, v[62:63]
	s_wait_loadcnt 0x4
	v_mul_f64_e32 v[60:61], v[18:19], v[22:23]
	s_wait_dscnt 0x3
	v_mul_f64_e32 v[22:23], v[42:43], v[22:23]
	s_wait_loadcnt 0x3
	v_mul_f64_e32 v[68:69], v[16:17], v[26:27]
	v_mul_f64_e32 v[26:27], v[40:41], v[26:27]
	s_wait_loadcnt 0x2
	v_mul_f64_e32 v[70:71], v[10:11], v[30:31]
	s_wait_dscnt 0x2
	v_mul_f64_e32 v[30:31], v[46:47], v[30:31]
	s_wait_loadcnt 0x1
	v_mul_f64_e32 v[72:73], v[12:13], v[34:35]
	s_wait_dscnt 0x1
	v_mul_f64_e32 v[34:35], v[48:49], v[34:35]
	s_wait_loadcnt 0x0
	v_mul_f64_e32 v[74:75], v[14:15], v[38:39]
	v_mul_f64_e32 v[38:39], v[50:51], v[38:39]
	v_fma_f64 v[42:43], v[42:43], v[20:21], v[60:61]
	v_fma_f64 v[18:19], v[18:19], v[20:21], -v[22:23]
	v_fma_f64 v[20:21], v[40:41], v[24:25], v[68:69]
	v_fma_f64 v[22:23], v[16:17], v[24:25], -v[26:27]
	v_fma_f64 v[24:25], v[46:47], v[28:29], v[70:71]
	v_fma_f64 v[26:27], v[10:11], v[28:29], -v[30:31]
	v_fma_f64 v[28:29], v[48:49], v[32:33], v[72:73]
	v_fma_f64 v[30:31], v[12:13], v[32:33], -v[34:35]
	v_fma_f64 v[32:33], v[50:51], v[36:37], v[74:75]
	v_fma_f64 v[34:35], v[14:15], v[36:37], -v[38:39]
	v_dual_mov_b32 v36, v65 :: v_dual_mov_b32 v39, v65
	ds_load_2addr_b64 v[56:59], v56 offset0:44 offset1:226
	v_lshrrev_b32_e32 v10, 1, v81
	v_lshrrev_b32_e32 v11, 1, v82
	;; [unrolled: 1-line block ×4, first 2 shown]
	v_mov_b32_e32 v41, v65
	v_mul_hi_u32 v14, 0x90090091, v10
	v_mul_hi_u32 v15, 0x90090091, v11
	v_lshlrev_b64_e32 v[10:11], 4, v[66:67]
	v_lshrrev_b32_e32 v85, 1, v80
	v_mul_u32_u24_e32 v16, 0x38e, v16
	v_mul_hi_u32 v12, 0x90090091, v12
	v_mov_b32_e32 v37, v65
	v_add_co_u32 v48, vcc_lo, s6, v10
	v_mul_hi_u32 v13, 0x90090091, v85
	s_wait_alu 0xfffd
	v_add_co_ci_u32_e32 v49, vcc_lo, s7, v11, vcc_lo
	v_sub_nc_u32_e32 v50, v64, v16
	v_lshrrev_b32_e32 v40, 8, v14
	v_lshrrev_b32_e32 v46, 8, v15
	;; [unrolled: 1-line block ×3, first 2 shown]
	v_add_co_u32 v70, vcc_lo, v48, v62
	v_lshrrev_b32_e32 v38, 8, v13
	v_add_f64_e64 v[12:13], v[44:45], -v[42:43]
	v_add_f64_e64 v[10:11], v[8:9], -v[18:19]
	s_wait_dscnt 0x0
	v_add_f64_e64 v[16:17], v[58:59], -v[20:21]
	v_add_f64_e64 v[14:15], v[6:7], -v[22:23]
	;; [unrolled: 1-line block ×8, first 2 shown]
	v_mul_u32_u24_e32 v60, 0x38e, v40
	v_mul_u32_u24_e32 v51, 0x38e, v38
	;; [unrolled: 1-line block ×4, first 2 shown]
	s_wait_alu 0xfffd
	v_add_co_ci_u32_e32 v71, vcc_lo, v49, v63, vcc_lo
	v_sub_nc_u32_e32 v32, v81, v60
	v_sub_nc_u32_e32 v30, v80, v51
	;; [unrolled: 1-line block ×4, first 2 shown]
	v_lshlrev_b32_e32 v31, 4, v50
	v_mad_u32_u24 v35, 0x71c, v40, v32
	v_mad_u32_u24 v75, 0x71c, v38, v30
	;; [unrolled: 1-line block ×4, first 2 shown]
	v_add_co_u32 v42, vcc_lo, v70, v31
	v_lshlrev_b64_e32 v[48:49], 4, v[35:36]
	v_add_nc_u32_e32 v36, 0x38e, v35
	v_add_nc_u32_e32 v40, 0x38e, v38
	v_lshlrev_b64_e32 v[60:61], 4, v[38:39]
	v_lshlrev_b64_e32 v[46:47], 4, v[75:76]
	s_wait_alu 0xfffd
	v_add_co_ci_u32_e32 v43, vcc_lo, 0, v71, vcc_lo
	v_lshlrev_b64_e32 v[66:67], 4, v[36:37]
	v_lshlrev_b64_e32 v[68:69], 4, v[40:41]
	v_add_nc_u32_e32 v76, 0x38e, v75
	v_lshlrev_b64_e32 v[50:51], 4, v[64:65]
	v_fma_f64 v[32:33], v[44:45], 2.0, -v[12:13]
	v_fma_f64 v[30:31], v[8:9], 2.0, -v[10:11]
	;; [unrolled: 1-line block ×10, first 2 shown]
	v_add_co_u32 v4, vcc_lo, v70, v46
	s_wait_alu 0xfffd
	v_add_co_ci_u32_e32 v5, vcc_lo, v71, v47, vcc_lo
	v_add_co_u32 v44, vcc_lo, v70, v48
	s_wait_alu 0xfffd
	v_add_co_ci_u32_e32 v45, vcc_lo, v71, v49, vcc_lo
	v_lshlrev_b64_e32 v[62:63], 4, v[76:77]
	v_add_co_u32 v46, vcc_lo, v70, v60
	s_wait_alu 0xfffd
	v_add_co_ci_u32_e32 v47, vcc_lo, v71, v61, vcc_lo
	v_add_co_u32 v48, vcc_lo, v70, v50
	v_add_nc_u32_e32 v64, 0x38e, v64
	s_wait_alu 0xfffd
	v_add_co_ci_u32_e32 v49, vcc_lo, v71, v51, vcc_lo
	v_add_co_u32 v50, vcc_lo, v70, v62
	s_wait_alu 0xfffd
	v_add_co_ci_u32_e32 v51, vcc_lo, v71, v63, vcc_lo
	v_lshlrev_b64_e32 v[64:65], 4, v[64:65]
	v_add_co_u32 v52, vcc_lo, v70, v66
	s_wait_alu 0xfffd
	v_add_co_ci_u32_e32 v53, vcc_lo, v71, v67, vcc_lo
	v_add_co_u32 v54, vcc_lo, v70, v68
	s_wait_alu 0xfffd
	v_add_co_ci_u32_e32 v55, vcc_lo, v71, v69, vcc_lo
	;; [unrolled: 3-line block ×3, first 2 shown]
	s_clause 0x9
	global_store_b128 v[42:43], v[34:37], off
	global_store_b128 v[42:43], v[18:21], off offset:14560
	global_store_b128 v[4:5], v[38:41], off
	global_store_b128 v[50:51], v[22:25], off
	global_store_b128 v[44:45], v[0:3], off
	global_store_b128 v[52:53], v[26:29], off
	global_store_b128 v[46:47], v[6:9], off
	global_store_b128 v[54:55], v[14:17], off
	global_store_b128 v[48:49], v[30:33], off
	global_store_b128 v[56:57], v[10:13], off
.LBB0_31:
	s_nop 0
	s_sendmsg sendmsg(MSG_DEALLOC_VGPRS)
	s_endpgm
	.section	.rodata,"a",@progbits
	.p2align	6, 0x0
	.amdhsa_kernel fft_rtc_fwd_len1820_factors_10_13_7_2_wgs_182_tpt_182_halfLds_dp_op_CI_CI_unitstride_sbrr_dirReg
		.amdhsa_group_segment_fixed_size 0
		.amdhsa_private_segment_fixed_size 0
		.amdhsa_kernarg_size 104
		.amdhsa_user_sgpr_count 2
		.amdhsa_user_sgpr_dispatch_ptr 0
		.amdhsa_user_sgpr_queue_ptr 0
		.amdhsa_user_sgpr_kernarg_segment_ptr 1
		.amdhsa_user_sgpr_dispatch_id 0
		.amdhsa_user_sgpr_private_segment_size 0
		.amdhsa_wavefront_size32 1
		.amdhsa_uses_dynamic_stack 0
		.amdhsa_enable_private_segment 0
		.amdhsa_system_sgpr_workgroup_id_x 1
		.amdhsa_system_sgpr_workgroup_id_y 0
		.amdhsa_system_sgpr_workgroup_id_z 0
		.amdhsa_system_sgpr_workgroup_info 0
		.amdhsa_system_vgpr_workitem_id 0
		.amdhsa_next_free_vgpr 182
		.amdhsa_next_free_sgpr 42
		.amdhsa_reserve_vcc 1
		.amdhsa_float_round_mode_32 0
		.amdhsa_float_round_mode_16_64 0
		.amdhsa_float_denorm_mode_32 3
		.amdhsa_float_denorm_mode_16_64 3
		.amdhsa_fp16_overflow 0
		.amdhsa_workgroup_processor_mode 1
		.amdhsa_memory_ordered 1
		.amdhsa_forward_progress 0
		.amdhsa_round_robin_scheduling 0
		.amdhsa_exception_fp_ieee_invalid_op 0
		.amdhsa_exception_fp_denorm_src 0
		.amdhsa_exception_fp_ieee_div_zero 0
		.amdhsa_exception_fp_ieee_overflow 0
		.amdhsa_exception_fp_ieee_underflow 0
		.amdhsa_exception_fp_ieee_inexact 0
		.amdhsa_exception_int_div_zero 0
	.end_amdhsa_kernel
	.text
.Lfunc_end0:
	.size	fft_rtc_fwd_len1820_factors_10_13_7_2_wgs_182_tpt_182_halfLds_dp_op_CI_CI_unitstride_sbrr_dirReg, .Lfunc_end0-fft_rtc_fwd_len1820_factors_10_13_7_2_wgs_182_tpt_182_halfLds_dp_op_CI_CI_unitstride_sbrr_dirReg
                                        ; -- End function
	.section	.AMDGPU.csdata,"",@progbits
; Kernel info:
; codeLenInByte = 10644
; NumSgprs: 44
; NumVgprs: 182
; ScratchSize: 0
; MemoryBound: 1
; FloatMode: 240
; IeeeMode: 1
; LDSByteSize: 0 bytes/workgroup (compile time only)
; SGPRBlocks: 5
; VGPRBlocks: 22
; NumSGPRsForWavesPerEU: 44
; NumVGPRsForWavesPerEU: 182
; Occupancy: 8
; WaveLimiterHint : 1
; COMPUTE_PGM_RSRC2:SCRATCH_EN: 0
; COMPUTE_PGM_RSRC2:USER_SGPR: 2
; COMPUTE_PGM_RSRC2:TRAP_HANDLER: 0
; COMPUTE_PGM_RSRC2:TGID_X_EN: 1
; COMPUTE_PGM_RSRC2:TGID_Y_EN: 0
; COMPUTE_PGM_RSRC2:TGID_Z_EN: 0
; COMPUTE_PGM_RSRC2:TIDIG_COMP_CNT: 0
	.text
	.p2alignl 7, 3214868480
	.fill 96, 4, 3214868480
	.type	__hip_cuid_240f8350e70b8537,@object ; @__hip_cuid_240f8350e70b8537
	.section	.bss,"aw",@nobits
	.globl	__hip_cuid_240f8350e70b8537
__hip_cuid_240f8350e70b8537:
	.byte	0                               ; 0x0
	.size	__hip_cuid_240f8350e70b8537, 1

	.ident	"AMD clang version 19.0.0git (https://github.com/RadeonOpenCompute/llvm-project roc-6.4.0 25133 c7fe45cf4b819c5991fe208aaa96edf142730f1d)"
	.section	".note.GNU-stack","",@progbits
	.addrsig
	.addrsig_sym __hip_cuid_240f8350e70b8537
	.amdgpu_metadata
---
amdhsa.kernels:
  - .args:
      - .actual_access:  read_only
        .address_space:  global
        .offset:         0
        .size:           8
        .value_kind:     global_buffer
      - .offset:         8
        .size:           8
        .value_kind:     by_value
      - .actual_access:  read_only
        .address_space:  global
        .offset:         16
        .size:           8
        .value_kind:     global_buffer
      - .actual_access:  read_only
        .address_space:  global
        .offset:         24
        .size:           8
        .value_kind:     global_buffer
      - .actual_access:  read_only
        .address_space:  global
        .offset:         32
        .size:           8
        .value_kind:     global_buffer
      - .offset:         40
        .size:           8
        .value_kind:     by_value
      - .actual_access:  read_only
        .address_space:  global
        .offset:         48
        .size:           8
        .value_kind:     global_buffer
      - .actual_access:  read_only
        .address_space:  global
        .offset:         56
        .size:           8
        .value_kind:     global_buffer
      - .offset:         64
        .size:           4
        .value_kind:     by_value
      - .actual_access:  read_only
        .address_space:  global
        .offset:         72
        .size:           8
        .value_kind:     global_buffer
      - .actual_access:  read_only
        .address_space:  global
        .offset:         80
        .size:           8
        .value_kind:     global_buffer
      - .actual_access:  read_only
        .address_space:  global
        .offset:         88
        .size:           8
        .value_kind:     global_buffer
      - .actual_access:  write_only
        .address_space:  global
        .offset:         96
        .size:           8
        .value_kind:     global_buffer
    .group_segment_fixed_size: 0
    .kernarg_segment_align: 8
    .kernarg_segment_size: 104
    .language:       OpenCL C
    .language_version:
      - 2
      - 0
    .max_flat_workgroup_size: 182
    .name:           fft_rtc_fwd_len1820_factors_10_13_7_2_wgs_182_tpt_182_halfLds_dp_op_CI_CI_unitstride_sbrr_dirReg
    .private_segment_fixed_size: 0
    .sgpr_count:     44
    .sgpr_spill_count: 0
    .symbol:         fft_rtc_fwd_len1820_factors_10_13_7_2_wgs_182_tpt_182_halfLds_dp_op_CI_CI_unitstride_sbrr_dirReg.kd
    .uniform_work_group_size: 1
    .uses_dynamic_stack: false
    .vgpr_count:     182
    .vgpr_spill_count: 0
    .wavefront_size: 32
    .workgroup_processor_mode: 1
amdhsa.target:   amdgcn-amd-amdhsa--gfx1201
amdhsa.version:
  - 1
  - 2
...

	.end_amdgpu_metadata
